;; amdgpu-corpus repo=pytorch/pytorch kind=compiled arch=gfx906 opt=O3
	.amdgcn_target "amdgcn-amd-amdhsa--gfx906"
	.amdhsa_code_object_version 6
	.section	.text._ZN2at6native12_GLOBAL__N_124philox_single_key_kernelIdZZZZNS0_21_philox_uniform_cuda_ERNS_6TensorERKS3_ddENKUlvE_clEvENKUlvE_clEvENKUlvE_clEvEUlmmE_ZZZNS0_21_philox_uniform_cuda_ES4_S6_ddENKS7_clEvENKS8_clEvEUlT_E_EEvPSB_PKmlT0_T1_,"axG",@progbits,_ZN2at6native12_GLOBAL__N_124philox_single_key_kernelIdZZZZNS0_21_philox_uniform_cuda_ERNS_6TensorERKS3_ddENKUlvE_clEvENKUlvE_clEvENKUlvE_clEvEUlmmE_ZZZNS0_21_philox_uniform_cuda_ES4_S6_ddENKS7_clEvENKS8_clEvEUlT_E_EEvPSB_PKmlT0_T1_,comdat
	.globl	_ZN2at6native12_GLOBAL__N_124philox_single_key_kernelIdZZZZNS0_21_philox_uniform_cuda_ERNS_6TensorERKS3_ddENKUlvE_clEvENKUlvE_clEvENKUlvE_clEvEUlmmE_ZZZNS0_21_philox_uniform_cuda_ES4_S6_ddENKS7_clEvENKS8_clEvEUlT_E_EEvPSB_PKmlT0_T1_ ; -- Begin function _ZN2at6native12_GLOBAL__N_124philox_single_key_kernelIdZZZZNS0_21_philox_uniform_cuda_ERNS_6TensorERKS3_ddENKUlvE_clEvENKUlvE_clEvENKUlvE_clEvEUlmmE_ZZZNS0_21_philox_uniform_cuda_ES4_S6_ddENKS7_clEvENKS8_clEvEUlT_E_EEvPSB_PKmlT0_T1_
	.p2align	8
	.type	_ZN2at6native12_GLOBAL__N_124philox_single_key_kernelIdZZZZNS0_21_philox_uniform_cuda_ERNS_6TensorERKS3_ddENKUlvE_clEvENKUlvE_clEvENKUlvE_clEvEUlmmE_ZZZNS0_21_philox_uniform_cuda_ES4_S6_ddENKS7_clEvENKS8_clEvEUlT_E_EEvPSB_PKmlT0_T1_,@function
_ZN2at6native12_GLOBAL__N_124philox_single_key_kernelIdZZZZNS0_21_philox_uniform_cuda_ERNS_6TensorERKS3_ddENKUlvE_clEvENKUlvE_clEvENKUlvE_clEvEUlmmE_ZZZNS0_21_philox_uniform_cuda_ES4_S6_ddENKS7_clEvENKS8_clEvEUlT_E_EEvPSB_PKmlT0_T1_: ; @_ZN2at6native12_GLOBAL__N_124philox_single_key_kernelIdZZZZNS0_21_philox_uniform_cuda_ERNS_6TensorERKS3_ddENKUlvE_clEvENKUlvE_clEvENKUlvE_clEvEUlmmE_ZZZNS0_21_philox_uniform_cuda_ES4_S6_ddENKS7_clEvENKS8_clEvEUlT_E_EEvPSB_PKmlT0_T1_
; %bb.0:
	s_load_dwordx2 s[16:17], s[6:7], 0x10
	s_load_dwordx4 s[12:15], s[6:7], 0x0
	s_load_dword s9, s[6:7], 0x3c
	s_load_dwordx4 s[0:3], s[6:7], 0x20
	v_mov_b32_e32 v3, v1
	s_waitcnt lgkmcnt(0)
	s_lshr_b32 s6, s17, 31
	s_add_u32 s6, s16, s6
	s_addc_u32 s7, s17, 0
	s_and_b32 s9, s9, 0xffff
	v_mov_b32_e32 v1, 0
	v_mov_b32_e32 v4, s8
	v_mad_u64_u32 v[4:5], s[8:9], s9, v4, v[0:1]
	s_load_dwordx4 s[8:11], s[14:15], 0x0
	s_ashr_i64 s[6:7], s[6:7], 1
	v_cmp_gt_i64_e32 vcc, s[6:7], v[4:5]
	s_and_saveexec_b64 s[14:15], vcc
	s_cbranch_execz .LBB0_2
; %bb.1:
	s_waitcnt lgkmcnt(0)
	v_add_co_u32_e32 v6, vcc, s10, v4
	s_mov_b32 s18, 0xd2511f53
	v_mul_hi_u32 v7, v6, s18
	v_mov_b32_e32 v1, s11
	v_addc_co_u32_e32 v1, vcc, v5, v1, vcc
	v_mul_lo_u32 v6, v6, s18
	v_xor_b32_e32 v1, s8, v1
	v_xor_b32_e32 v7, s9, v7
	s_mov_b32 s22, 0xcd9e8d57
	v_mul_lo_u32 v9, v1, s18
	v_mul_hi_u32 v1, v1, s18
	v_mul_hi_u32 v8, v7, s22
	s_add_i32 s21, s9, 0xbb67ae85
	v_xor_b32_e32 v6, s21, v6
	s_add_i32 s20, s8, 0x9e3779b9
	v_mul_lo_u32 v7, v7, s22
	v_xor_b32_e32 v1, v6, v1
	v_xor_b32_e32 v8, s20, v8
	v_mul_hi_u32 v10, v1, s22
	v_mul_lo_u32 v6, v8, s18
	v_mul_hi_u32 v8, v8, s18
	s_add_i32 s20, s8, 0x3c6ef372
	s_add_i32 s21, s9, 0x76cf5d0a
	v_xor_b32_e32 v7, s20, v7
	v_xor_b32_e32 v7, v7, v10
	v_xor_b32_e32 v9, s21, v9
	v_mul_lo_u32 v1, v1, s22
	v_xor_b32_e32 v8, v9, v8
	v_mul_lo_u32 v9, v7, s18
	v_mul_hi_u32 v7, v7, s18
	v_mul_hi_u32 v10, v8, s22
	s_add_i32 s21, s9, 0x32370b8f
	s_add_i32 s20, s8, 0xdaa66d2b
	v_xor_b32_e32 v6, s21, v6
	v_mul_lo_u32 v8, v8, s22
	v_xor_b32_e32 v1, s20, v1
	v_xor_b32_e32 v6, v6, v7
	v_xor_b32_e32 v1, v1, v10
	v_mul_hi_u32 v10, v6, s22
	v_mul_lo_u32 v7, v1, s18
	v_mul_hi_u32 v1, v1, s18
	s_add_i32 s20, s8, 0x78dde6e4
	s_add_i32 s21, s9, 0xed9eba14
	v_xor_b32_e32 v8, s20, v8
	v_xor_b32_e32 v8, v8, v10
	v_xor_b32_e32 v9, s21, v9
	v_mul_lo_u32 v6, v6, s22
	v_xor_b32_e32 v1, v9, v1
	v_mul_lo_u32 v9, v8, s18
	v_mul_hi_u32 v8, v8, s18
	v_mul_hi_u32 v10, v1, s22
	s_add_i32 s21, s9, 0xa9066899
	s_add_i32 s20, s8, 0x1715609d
	v_xor_b32_e32 v7, s21, v7
	v_mul_lo_u32 v1, v1, s22
	v_xor_b32_e32 v6, s20, v6
	;; [unrolled: 20-line block ×3, first 2 shown]
	v_xor_b32_e32 v1, v8, v1
	v_xor_b32_e32 v7, v7, v10
	s_mov_b32 s23, 0x111f53
	v_mul_hi_u32 v10, v1, s22
	v_mul_lo_u32 v8, v7, s23
	v_mul_hi_u32 v7, v7, s18
	s_add_i32 s20, s8, 0xf1bbcdc8
	s_add_i32 s21, s9, 0xdb3d7428
	v_xor_b32_e32 v6, s20, v6
	s_mov_b32 s23, 0x1e8d57
	v_xor_b32_e32 v10, v6, v10
	v_xor_b32_e32 v6, s21, v9
	v_mul_lo_u32 v1, v1, s23
	v_xor_b32_e32 v11, v6, v7
	v_mul_hi_u32 v6, v11, s22
	v_mul_hi_u32 v7, v10, s18
	s_add_i32 s19, s8, 0x134781
	s_add_i32 s20, s9, 0x522ad
	v_xor_b32_e32 v1, s19, v1
	v_xor_b32_e32 v1, v1, v6
	;; [unrolled: 1-line block ×4, first 2 shown]
	v_and_b32_e32 v1, 0x1fffff, v1
	v_cvt_f64_u32_e32 v[6:7], v1
	v_and_b32_e32 v1, 0x1fffff, v8
	v_cvt_f64_u32_e32 v[8:9], v1
	v_mul_lo_u32 v1, v10, s18
	v_mul_lo_u32 v10, v11, s22
	v_ldexp_f64 v[6:7], v[6:7], 32
	v_ldexp_f64 v[8:9], v[8:9], 32
	v_cvt_f64_u32_e32 v[12:13], v1
	v_cvt_f64_u32_e32 v[10:11], v10
	s_movk_i32 s18, 0xffcb
	v_mov_b32_e32 v1, s13
	v_add_f64 v[6:7], v[6:7], v[10:11]
	v_add_f64 v[8:9], v[8:9], v[12:13]
	v_mov_b32_e32 v11, s1
	v_mov_b32_e32 v10, s0
	v_add_f64 v[10:11], s[2:3], -v[10:11]
	v_ldexp_f64 v[6:7], v[6:7], s18
	v_ldexp_f64 v[8:9], v[8:9], s18
	v_fma_f64 v[6:7], v[10:11], v[6:7], s[0:1]
	v_fma_f64 v[8:9], v[10:11], v[8:9], s[0:1]
	v_lshlrev_b64 v[10:11], 4, v[4:5]
	v_add_co_u32_e32 v10, vcc, s12, v10
	v_addc_co_u32_e32 v11, vcc, v1, v11, vcc
	global_store_dwordx4 v[10:11], v[6:9], off
.LBB0_2:
	s_or_b64 exec, exec, s[14:15]
	v_cmp_eq_u64_e32 vcc, s[6:7], v[4:5]
	s_and_saveexec_b64 s[14:15], vcc
	s_cbranch_execz .LBB0_6
; %bb.3:
	s_load_dwordx2 s[14:15], s[4:5], 0x4
	s_lshl_b64 s[4:5], s[6:7], 1
	s_waitcnt lgkmcnt(0)
	s_lshr_b32 s14, s14, 16
	s_mul_i32 s14, s14, s15
	v_mul_lo_u32 v0, s14, v0
	s_add_u32 s6, s10, s6
	s_addc_u32 s10, s11, s7
	s_mul_hi_u32 s7, s6, 0xd2511f53
	s_mul_i32 s14, s6, 0xd2511f53
	s_xor_b64 s[6:7], s[6:7], s[8:9]
	s_xor_b32 s10, s10, s8
	v_mad_u32_u24 v0, v3, s15, v0
	s_add_i32 s6, s8, 0x9e3779b9
	s_add_i32 s15, s9, 0xbb67ae85
	s_mul_i32 s19, s7, 0xcd9e8d57
	s_mul_hi_u32 s7, s7, 0xcd9e8d57
	s_mul_i32 s18, s10, 0xd2511f53
	s_mul_hi_u32 s10, s10, 0xd2511f53
	s_xor_b32 s6, s6, s7
	s_xor_b32 s7, s14, s15
	s_xor_b32 s7, s7, s10
	s_add_i32 s10, s8, 0x3c6ef372
	s_add_i32 s14, s9, 0x76cf5d0a
	s_mul_i32 s20, s7, 0xcd9e8d57
	s_mul_hi_u32 s7, s7, 0xcd9e8d57
	s_xor_b32 s10, s19, s10
	s_mul_i32 s15, s6, 0xd2511f53
	s_mul_hi_u32 s6, s6, 0xd2511f53
	s_xor_b32 s7, s10, s7
	s_xor_b32 s10, s18, s14
	s_xor_b32 s6, s10, s6
	s_add_i32 s10, s8, 0xdaa66d2b
	s_add_i32 s14, s9, 0x32370b8f
	s_mul_i32 s19, s6, 0xcd9e8d57
	s_mul_hi_u32 s6, s6, 0xcd9e8d57
	s_xor_b32 s10, s20, s10
	;; [unrolled: 10-line block ×6, first 2 shown]
	s_mul_i32 s18, s7, 0xd2511f53
	s_mul_hi_u32 s7, s7, 0xd2511f53
	s_xor_b32 s6, s10, s6
	s_xor_b32 s10, s15, s14
	s_add_i32 s11, s8, 0x8ff34781
	s_xor_b32 s7, s10, s7
	s_add_i32 s8, s8, 0xf1bbcdc8
	s_add_i32 s10, s9, 0xdb3d7428
	s_mul_i32 s15, s7, 0xcd9e8d57
	s_mul_hi_u32 s7, s7, 0xcd9e8d57
	s_xor_b32 s8, s19, s8
	s_mul_i32 s14, s6, 0xd2511f53
	s_mul_hi_u32 s6, s6, 0xd2511f53
	s_xor_b32 s7, s8, s7
	s_xor_b32 s8, s18, s10
	;; [unrolled: 1-line block ×3, first 2 shown]
	s_add_i32 s8, s9, 0x96a522ad
	s_mul_i32 s9, s7, 0xd2511f53
	s_mul_hi_u32 s7, s7, 0xd2511f53
	s_mul_i32 s10, s6, 0xcd9e8d57
	s_mul_hi_u32 s6, s6, 0xcd9e8d57
	s_xor_b32 s11, s15, s11
	s_xor_b32 s8, s14, s8
	s_xor_b32 s6, s11, s6
	s_xor_b32 s7, s8, s7
	v_mov_b32_e32 v4, s6
	s_sub_u32 s6, s16, s4
	v_mov_b32_e32 v6, s7
	s_subb_u32 s7, s17, s5
	v_mov_b32_e32 v5, s9
	v_cmp_lt_i64_e64 s[8:9], s[6:7], 1
	v_add_lshl_u32 v2, v0, v2, 4
	v_mov_b32_e32 v3, s10
	s_and_b64 vcc, exec, s[8:9]
	ds_write_b128 v2, v[3:6]
	s_cbranch_vccnz .LBB0_6
; %bb.4:
	v_mov_b32_e32 v0, s0
	v_mov_b32_e32 v1, s1
	v_add_f64 v[0:1], s[2:3], -v[0:1]
	s_lshl_b64 s[2:3], s[4:5], 3
	s_add_u32 s2, s12, s2
	s_addc_u32 s3, s13, s3
	s_mov_b64 s[4:5], 0
	s_movk_i32 s8, 0xffcb
	v_mov_b32_e32 v3, 0
.LBB0_5:                                ; =>This Inner Loop Header: Depth=1
	ds_read_b64 v[4:5], v2
	s_add_u32 s4, s4, 1
	s_addc_u32 s5, s5, 0
	v_add_u32_e32 v2, 8, v2
	s_waitcnt lgkmcnt(0)
	v_and_b32_e32 v5, 0x1fffff, v5
	v_cvt_f64_u32_e32 v[5:6], v5
	v_cvt_f64_u32_e32 v[7:8], v4
	v_ldexp_f64 v[5:6], v[5:6], 32
	v_add_f64 v[4:5], v[5:6], v[7:8]
	v_mov_b32_e32 v7, s5
	v_mov_b32_e32 v6, s4
	v_cmp_gt_i64_e32 vcc, s[6:7], v[6:7]
	v_ldexp_f64 v[4:5], v[4:5], s8
	v_fma_f64 v[4:5], v[0:1], v[4:5], s[0:1]
	global_store_dwordx2 v3, v[4:5], s[2:3]
	s_add_u32 s2, s2, 8
	s_addc_u32 s3, s3, 0
	s_cbranch_vccnz .LBB0_5
.LBB0_6:
	s_endpgm
	.section	.rodata,"a",@progbits
	.p2align	6, 0x0
	.amdhsa_kernel _ZN2at6native12_GLOBAL__N_124philox_single_key_kernelIdZZZZNS0_21_philox_uniform_cuda_ERNS_6TensorERKS3_ddENKUlvE_clEvENKUlvE_clEvENKUlvE_clEvEUlmmE_ZZZNS0_21_philox_uniform_cuda_ES4_S6_ddENKS7_clEvENKS8_clEvEUlT_E_EEvPSB_PKmlT0_T1_
		.amdhsa_group_segment_fixed_size 16384
		.amdhsa_private_segment_fixed_size 0
		.amdhsa_kernarg_size 304
		.amdhsa_user_sgpr_count 8
		.amdhsa_user_sgpr_private_segment_buffer 1
		.amdhsa_user_sgpr_dispatch_ptr 1
		.amdhsa_user_sgpr_queue_ptr 0
		.amdhsa_user_sgpr_kernarg_segment_ptr 1
		.amdhsa_user_sgpr_dispatch_id 0
		.amdhsa_user_sgpr_flat_scratch_init 0
		.amdhsa_user_sgpr_private_segment_size 0
		.amdhsa_uses_dynamic_stack 0
		.amdhsa_system_sgpr_private_segment_wavefront_offset 0
		.amdhsa_system_sgpr_workgroup_id_x 1
		.amdhsa_system_sgpr_workgroup_id_y 0
		.amdhsa_system_sgpr_workgroup_id_z 0
		.amdhsa_system_sgpr_workgroup_info 0
		.amdhsa_system_vgpr_workitem_id 2
		.amdhsa_next_free_vgpr 14
		.amdhsa_next_free_sgpr 24
		.amdhsa_reserve_vcc 1
		.amdhsa_reserve_flat_scratch 0
		.amdhsa_float_round_mode_32 0
		.amdhsa_float_round_mode_16_64 0
		.amdhsa_float_denorm_mode_32 3
		.amdhsa_float_denorm_mode_16_64 3
		.amdhsa_dx10_clamp 1
		.amdhsa_ieee_mode 1
		.amdhsa_fp16_overflow 0
		.amdhsa_exception_fp_ieee_invalid_op 0
		.amdhsa_exception_fp_denorm_src 0
		.amdhsa_exception_fp_ieee_div_zero 0
		.amdhsa_exception_fp_ieee_overflow 0
		.amdhsa_exception_fp_ieee_underflow 0
		.amdhsa_exception_fp_ieee_inexact 0
		.amdhsa_exception_int_div_zero 0
	.end_amdhsa_kernel
	.section	.text._ZN2at6native12_GLOBAL__N_124philox_single_key_kernelIdZZZZNS0_21_philox_uniform_cuda_ERNS_6TensorERKS3_ddENKUlvE_clEvENKUlvE_clEvENKUlvE_clEvEUlmmE_ZZZNS0_21_philox_uniform_cuda_ES4_S6_ddENKS7_clEvENKS8_clEvEUlT_E_EEvPSB_PKmlT0_T1_,"axG",@progbits,_ZN2at6native12_GLOBAL__N_124philox_single_key_kernelIdZZZZNS0_21_philox_uniform_cuda_ERNS_6TensorERKS3_ddENKUlvE_clEvENKUlvE_clEvENKUlvE_clEvEUlmmE_ZZZNS0_21_philox_uniform_cuda_ES4_S6_ddENKS7_clEvENKS8_clEvEUlT_E_EEvPSB_PKmlT0_T1_,comdat
.Lfunc_end0:
	.size	_ZN2at6native12_GLOBAL__N_124philox_single_key_kernelIdZZZZNS0_21_philox_uniform_cuda_ERNS_6TensorERKS3_ddENKUlvE_clEvENKUlvE_clEvENKUlvE_clEvEUlmmE_ZZZNS0_21_philox_uniform_cuda_ES4_S6_ddENKS7_clEvENKS8_clEvEUlT_E_EEvPSB_PKmlT0_T1_, .Lfunc_end0-_ZN2at6native12_GLOBAL__N_124philox_single_key_kernelIdZZZZNS0_21_philox_uniform_cuda_ERNS_6TensorERKS3_ddENKUlvE_clEvENKUlvE_clEvENKUlvE_clEvEUlmmE_ZZZNS0_21_philox_uniform_cuda_ES4_S6_ddENKS7_clEvENKS8_clEvEUlT_E_EEvPSB_PKmlT0_T1_
                                        ; -- End function
	.set _ZN2at6native12_GLOBAL__N_124philox_single_key_kernelIdZZZZNS0_21_philox_uniform_cuda_ERNS_6TensorERKS3_ddENKUlvE_clEvENKUlvE_clEvENKUlvE_clEvEUlmmE_ZZZNS0_21_philox_uniform_cuda_ES4_S6_ddENKS7_clEvENKS8_clEvEUlT_E_EEvPSB_PKmlT0_T1_.num_vgpr, 14
	.set _ZN2at6native12_GLOBAL__N_124philox_single_key_kernelIdZZZZNS0_21_philox_uniform_cuda_ERNS_6TensorERKS3_ddENKUlvE_clEvENKUlvE_clEvENKUlvE_clEvEUlmmE_ZZZNS0_21_philox_uniform_cuda_ES4_S6_ddENKS7_clEvENKS8_clEvEUlT_E_EEvPSB_PKmlT0_T1_.num_agpr, 0
	.set _ZN2at6native12_GLOBAL__N_124philox_single_key_kernelIdZZZZNS0_21_philox_uniform_cuda_ERNS_6TensorERKS3_ddENKUlvE_clEvENKUlvE_clEvENKUlvE_clEvEUlmmE_ZZZNS0_21_philox_uniform_cuda_ES4_S6_ddENKS7_clEvENKS8_clEvEUlT_E_EEvPSB_PKmlT0_T1_.numbered_sgpr, 24
	.set _ZN2at6native12_GLOBAL__N_124philox_single_key_kernelIdZZZZNS0_21_philox_uniform_cuda_ERNS_6TensorERKS3_ddENKUlvE_clEvENKUlvE_clEvENKUlvE_clEvEUlmmE_ZZZNS0_21_philox_uniform_cuda_ES4_S6_ddENKS7_clEvENKS8_clEvEUlT_E_EEvPSB_PKmlT0_T1_.num_named_barrier, 0
	.set _ZN2at6native12_GLOBAL__N_124philox_single_key_kernelIdZZZZNS0_21_philox_uniform_cuda_ERNS_6TensorERKS3_ddENKUlvE_clEvENKUlvE_clEvENKUlvE_clEvEUlmmE_ZZZNS0_21_philox_uniform_cuda_ES4_S6_ddENKS7_clEvENKS8_clEvEUlT_E_EEvPSB_PKmlT0_T1_.private_seg_size, 0
	.set _ZN2at6native12_GLOBAL__N_124philox_single_key_kernelIdZZZZNS0_21_philox_uniform_cuda_ERNS_6TensorERKS3_ddENKUlvE_clEvENKUlvE_clEvENKUlvE_clEvEUlmmE_ZZZNS0_21_philox_uniform_cuda_ES4_S6_ddENKS7_clEvENKS8_clEvEUlT_E_EEvPSB_PKmlT0_T1_.uses_vcc, 1
	.set _ZN2at6native12_GLOBAL__N_124philox_single_key_kernelIdZZZZNS0_21_philox_uniform_cuda_ERNS_6TensorERKS3_ddENKUlvE_clEvENKUlvE_clEvENKUlvE_clEvEUlmmE_ZZZNS0_21_philox_uniform_cuda_ES4_S6_ddENKS7_clEvENKS8_clEvEUlT_E_EEvPSB_PKmlT0_T1_.uses_flat_scratch, 0
	.set _ZN2at6native12_GLOBAL__N_124philox_single_key_kernelIdZZZZNS0_21_philox_uniform_cuda_ERNS_6TensorERKS3_ddENKUlvE_clEvENKUlvE_clEvENKUlvE_clEvEUlmmE_ZZZNS0_21_philox_uniform_cuda_ES4_S6_ddENKS7_clEvENKS8_clEvEUlT_E_EEvPSB_PKmlT0_T1_.has_dyn_sized_stack, 0
	.set _ZN2at6native12_GLOBAL__N_124philox_single_key_kernelIdZZZZNS0_21_philox_uniform_cuda_ERNS_6TensorERKS3_ddENKUlvE_clEvENKUlvE_clEvENKUlvE_clEvEUlmmE_ZZZNS0_21_philox_uniform_cuda_ES4_S6_ddENKS7_clEvENKS8_clEvEUlT_E_EEvPSB_PKmlT0_T1_.has_recursion, 0
	.set _ZN2at6native12_GLOBAL__N_124philox_single_key_kernelIdZZZZNS0_21_philox_uniform_cuda_ERNS_6TensorERKS3_ddENKUlvE_clEvENKUlvE_clEvENKUlvE_clEvEUlmmE_ZZZNS0_21_philox_uniform_cuda_ES4_S6_ddENKS7_clEvENKS8_clEvEUlT_E_EEvPSB_PKmlT0_T1_.has_indirect_call, 0
	.section	.AMDGPU.csdata,"",@progbits
; Kernel info:
; codeLenInByte = 1752
; TotalNumSgprs: 28
; NumVgprs: 14
; ScratchSize: 0
; MemoryBound: 0
; FloatMode: 240
; IeeeMode: 1
; LDSByteSize: 16384 bytes/workgroup (compile time only)
; SGPRBlocks: 3
; VGPRBlocks: 3
; NumSGPRsForWavesPerEU: 28
; NumVGPRsForWavesPerEU: 14
; Occupancy: 8
; WaveLimiterHint : 0
; COMPUTE_PGM_RSRC2:SCRATCH_EN: 0
; COMPUTE_PGM_RSRC2:USER_SGPR: 8
; COMPUTE_PGM_RSRC2:TRAP_HANDLER: 0
; COMPUTE_PGM_RSRC2:TGID_X_EN: 1
; COMPUTE_PGM_RSRC2:TGID_Y_EN: 0
; COMPUTE_PGM_RSRC2:TGID_Z_EN: 0
; COMPUTE_PGM_RSRC2:TIDIG_COMP_CNT: 2
	.section	.text._ZN2at6native12_GLOBAL__N_123philox_multi_key_kernelIdZZZZNS0_21_philox_uniform_cuda_ERNS_6TensorERKS3_ddENKUlvE_clEvENKUlvE_clEvENKUlvE_clEvEUlmmE_ZZZNS0_21_philox_uniform_cuda_ES4_S6_ddENKS7_clEvENKS8_clEvEUlT_E_EEvPSB_PKmllT0_T1_16OffsetCalculatorILi1EjLb0EE,"axG",@progbits,_ZN2at6native12_GLOBAL__N_123philox_multi_key_kernelIdZZZZNS0_21_philox_uniform_cuda_ERNS_6TensorERKS3_ddENKUlvE_clEvENKUlvE_clEvENKUlvE_clEvEUlmmE_ZZZNS0_21_philox_uniform_cuda_ES4_S6_ddENKS7_clEvENKS8_clEvEUlT_E_EEvPSB_PKmllT0_T1_16OffsetCalculatorILi1EjLb0EE,comdat
	.globl	_ZN2at6native12_GLOBAL__N_123philox_multi_key_kernelIdZZZZNS0_21_philox_uniform_cuda_ERNS_6TensorERKS3_ddENKUlvE_clEvENKUlvE_clEvENKUlvE_clEvEUlmmE_ZZZNS0_21_philox_uniform_cuda_ES4_S6_ddENKS7_clEvENKS8_clEvEUlT_E_EEvPSB_PKmllT0_T1_16OffsetCalculatorILi1EjLb0EE ; -- Begin function _ZN2at6native12_GLOBAL__N_123philox_multi_key_kernelIdZZZZNS0_21_philox_uniform_cuda_ERNS_6TensorERKS3_ddENKUlvE_clEvENKUlvE_clEvENKUlvE_clEvEUlmmE_ZZZNS0_21_philox_uniform_cuda_ES4_S6_ddENKS7_clEvENKS8_clEvEUlT_E_EEvPSB_PKmllT0_T1_16OffsetCalculatorILi1EjLb0EE
	.p2align	8
	.type	_ZN2at6native12_GLOBAL__N_123philox_multi_key_kernelIdZZZZNS0_21_philox_uniform_cuda_ERNS_6TensorERKS3_ddENKUlvE_clEvENKUlvE_clEvENKUlvE_clEvEUlmmE_ZZZNS0_21_philox_uniform_cuda_ES4_S6_ddENKS7_clEvENKS8_clEvEUlT_E_EEvPSB_PKmllT0_T1_16OffsetCalculatorILi1EjLb0EE,@function
_ZN2at6native12_GLOBAL__N_123philox_multi_key_kernelIdZZZZNS0_21_philox_uniform_cuda_ERNS_6TensorERKS3_ddENKUlvE_clEvENKUlvE_clEvENKUlvE_clEvEUlmmE_ZZZNS0_21_philox_uniform_cuda_ES4_S6_ddENKS7_clEvENKS8_clEvEUlT_E_EEvPSB_PKmllT0_T1_16OffsetCalculatorILi1EjLb0EE: ; @_ZN2at6native12_GLOBAL__N_123philox_multi_key_kernelIdZZZZNS0_21_philox_uniform_cuda_ERNS_6TensorERKS3_ddENKUlvE_clEvENKUlvE_clEvENKUlvE_clEvEUlmmE_ZZZNS0_21_philox_uniform_cuda_ES4_S6_ddENKS7_clEvENKS8_clEvEUlT_E_EEvPSB_PKmllT0_T1_16OffsetCalculatorILi1EjLb0EE
; %bb.0:
	s_load_dwordx4 s[0:3], s[4:5], 0x10
	s_load_dword s7, s[4:5], 0x14c
	v_mov_b32_e32 v2, 0
	v_mov_b32_e32 v1, v2
	;; [unrolled: 1-line block ×3, first 2 shown]
	s_waitcnt lgkmcnt(0)
	s_add_u32 s8, s2, 1
	s_addc_u32 s9, s3, 0
	s_lshr_b32 s10, s9, 31
	s_add_u32 s8, s8, s10
	s_addc_u32 s9, s9, 0
	s_and_b32 s7, s7, 0xffff
	s_ashr_i64 s[24:25], s[8:9], 1
	v_mad_u64_u32 v[0:1], s[6:7], s7, v3, v[0:1]
	s_mul_i32 s1, s24, s1
	s_mul_hi_u32 s8, s24, s0
	s_add_i32 s1, s8, s1
	s_mul_i32 s6, s25, s0
	s_add_i32 s1, s1, s6
	s_mul_i32 s0, s24, s0
	v_cmp_gt_i64_e32 vcc, s[0:1], v[0:1]
	s_and_saveexec_b64 s[0:1], vcc
	s_cbranch_execz .LBB1_23
; %bb.1:
	v_or_b32_e32 v3, s25, v1
	v_cmp_ne_u64_e32 vcc, 0, v[2:3]
                                        ; implicit-def: $vgpr2_vgpr3
	s_and_saveexec_b64 s[0:1], vcc
	s_xor_b64 s[6:7], exec, s[0:1]
	s_cbranch_execz .LBB1_3
; %bb.2:
	s_ashr_i32 s8, s25, 31
	s_add_u32 s0, s24, s8
	s_mov_b32 s9, s8
	s_addc_u32 s1, s25, s8
	s_xor_b64 s[10:11], s[0:1], s[8:9]
	v_cvt_f32_u32_e32 v2, s10
	v_cvt_f32_u32_e32 v3, s11
	s_sub_u32 s9, 0, s10
	s_subb_u32 s12, 0, s11
	v_ashrrev_i32_e32 v6, 31, v1
	v_madmk_f32 v2, v3, 0x4f800000, v2
	v_rcp_f32_e32 v2, v2
	v_mul_f32_e32 v2, 0x5f7ffffc, v2
	v_mul_f32_e32 v3, 0x2f800000, v2
	v_trunc_f32_e32 v3, v3
	v_madmk_f32 v2, v3, 0xcf800000, v2
	v_cvt_u32_f32_e32 v3, v3
	v_cvt_u32_f32_e32 v2, v2
	v_readfirstlane_b32 s13, v3
	v_readfirstlane_b32 s0, v2
	s_mul_i32 s1, s9, s13
	s_mul_hi_u32 s15, s9, s0
	s_mul_i32 s14, s12, s0
	s_add_i32 s1, s15, s1
	s_add_i32 s1, s1, s14
	s_mul_i32 s16, s9, s0
	s_mul_i32 s15, s0, s1
	s_mul_hi_u32 s17, s0, s16
	s_mul_hi_u32 s14, s0, s1
	s_add_u32 s15, s17, s15
	s_addc_u32 s14, 0, s14
	s_mul_hi_u32 s18, s13, s16
	s_mul_i32 s16, s13, s16
	s_add_u32 s15, s15, s16
	s_mul_hi_u32 s17, s13, s1
	s_addc_u32 s14, s14, s18
	s_addc_u32 s15, s17, 0
	s_mul_i32 s1, s13, s1
	s_add_u32 s1, s14, s1
	s_addc_u32 s14, 0, s15
	s_add_u32 s15, s0, s1
	s_cselect_b64 s[0:1], -1, 0
	s_cmp_lg_u64 s[0:1], 0
	s_addc_u32 s13, s13, s14
	s_mul_i32 s0, s9, s13
	s_mul_hi_u32 s1, s9, s15
	s_add_i32 s0, s1, s0
	s_mul_i32 s12, s12, s15
	s_add_i32 s0, s0, s12
	s_mul_i32 s9, s9, s15
	s_mul_hi_u32 s12, s13, s9
	s_mul_i32 s14, s13, s9
	s_mul_i32 s17, s15, s0
	s_mul_hi_u32 s9, s15, s9
	s_mul_hi_u32 s16, s15, s0
	s_add_u32 s9, s9, s17
	s_addc_u32 s16, 0, s16
	s_add_u32 s9, s9, s14
	s_mul_hi_u32 s1, s13, s0
	s_addc_u32 s9, s16, s12
	s_addc_u32 s1, s1, 0
	s_mul_i32 s0, s13, s0
	s_add_u32 s0, s9, s0
	s_addc_u32 s9, 0, s1
	s_add_u32 s12, s15, s0
	s_cselect_b64 s[0:1], -1, 0
	s_cmp_lg_u64 s[0:1], 0
	v_add_co_u32_e32 v2, vcc, v0, v6
	s_addc_u32 s9, s13, s9
	v_xor_b32_e32 v7, v2, v6
	v_mad_u64_u32 v[2:3], s[0:1], v7, s9, 0
	v_mul_hi_u32 v5, v7, s12
	v_addc_co_u32_e32 v4, vcc, v1, v6, vcc
	v_xor_b32_e32 v8, v4, v6
	v_add_co_u32_e32 v9, vcc, v5, v2
	v_addc_co_u32_e32 v10, vcc, 0, v3, vcc
	v_mad_u64_u32 v[2:3], s[0:1], v8, s12, 0
	v_mad_u64_u32 v[4:5], s[0:1], v8, s9, 0
	v_add_co_u32_e32 v2, vcc, v9, v2
	v_addc_co_u32_e32 v2, vcc, v10, v3, vcc
	v_addc_co_u32_e32 v3, vcc, 0, v5, vcc
	v_add_co_u32_e32 v4, vcc, v2, v4
	v_addc_co_u32_e32 v5, vcc, 0, v3, vcc
	v_mul_lo_u32 v9, s11, v4
	v_mul_lo_u32 v10, s10, v5
	v_mad_u64_u32 v[2:3], s[0:1], s10, v4, 0
	v_add3_u32 v3, v3, v10, v9
	v_sub_u32_e32 v9, v8, v3
	v_mov_b32_e32 v10, s11
	v_sub_co_u32_e32 v2, vcc, v7, v2
	v_subb_co_u32_e64 v7, s[0:1], v9, v10, vcc
	v_subrev_co_u32_e64 v9, s[0:1], s10, v2
	v_subbrev_co_u32_e64 v7, s[0:1], 0, v7, s[0:1]
	v_cmp_le_u32_e64 s[0:1], s11, v7
	v_cndmask_b32_e64 v10, 0, -1, s[0:1]
	v_cmp_le_u32_e64 s[0:1], s10, v9
	v_cndmask_b32_e64 v9, 0, -1, s[0:1]
	v_cmp_eq_u32_e64 s[0:1], s11, v7
	v_cndmask_b32_e64 v7, v10, v9, s[0:1]
	v_add_co_u32_e64 v9, s[0:1], 2, v4
	v_subb_co_u32_e32 v3, vcc, v8, v3, vcc
	v_addc_co_u32_e64 v10, s[0:1], 0, v5, s[0:1]
	v_cmp_le_u32_e32 vcc, s11, v3
	v_add_co_u32_e64 v11, s[0:1], 1, v4
	v_cndmask_b32_e64 v8, 0, -1, vcc
	v_cmp_le_u32_e32 vcc, s10, v2
	v_addc_co_u32_e64 v12, s[0:1], 0, v5, s[0:1]
	v_cndmask_b32_e64 v2, 0, -1, vcc
	v_cmp_eq_u32_e32 vcc, s11, v3
	v_cmp_ne_u32_e64 s[0:1], 0, v7
	v_cndmask_b32_e32 v2, v8, v2, vcc
	v_cndmask_b32_e64 v7, v12, v10, s[0:1]
	v_cmp_ne_u32_e32 vcc, 0, v2
	v_cndmask_b32_e64 v3, v11, v9, s[0:1]
	v_cndmask_b32_e32 v2, v5, v7, vcc
	v_cndmask_b32_e32 v3, v4, v3, vcc
	v_xor_b32_e32 v4, s8, v6
	v_xor_b32_e32 v5, v2, v4
	;; [unrolled: 1-line block ×3, first 2 shown]
	v_sub_co_u32_e32 v2, vcc, v2, v4
	v_subb_co_u32_e32 v3, vcc, v5, v4, vcc
.LBB1_3:
	s_andn2_saveexec_b64 s[0:1], s[6:7]
	s_cbranch_execz .LBB1_5
; %bb.4:
	v_cvt_f32_u32_e32 v2, s24
	s_sub_i32 s6, 0, s24
	v_rcp_iflag_f32_e32 v2, v2
	v_mul_f32_e32 v2, 0x4f7ffffe, v2
	v_cvt_u32_f32_e32 v2, v2
	v_mul_lo_u32 v3, s6, v2
	v_mul_hi_u32 v3, v2, v3
	v_add_u32_e32 v2, v2, v3
	v_mul_hi_u32 v2, v0, v2
	v_mul_lo_u32 v3, v2, s24
	v_add_u32_e32 v4, 1, v2
	v_sub_u32_e32 v3, v0, v3
	v_subrev_u32_e32 v5, s24, v3
	v_cmp_le_u32_e32 vcc, s24, v3
	v_cndmask_b32_e32 v3, v3, v5, vcc
	v_cndmask_b32_e32 v2, v2, v4, vcc
	v_add_u32_e32 v4, 1, v2
	v_cmp_le_u32_e32 vcc, s24, v3
	v_cndmask_b32_e32 v2, v2, v4, vcc
	v_mov_b32_e32 v3, 0
.LBB1_5:
	s_or_b64 exec, exec, s[0:1]
	s_load_dword s30, s[4:5], 0x38
	s_load_dwordx2 s[0:1], s[4:5], 0x8
	s_add_u32 s26, s4, 56
	s_addc_u32 s27, s5, 0
	s_waitcnt lgkmcnt(0)
	s_add_i32 s6, s30, -1
	s_cmp_lt_u32 s6, 2
	s_cbranch_scc1 .LBB1_11
; %bb.6:
	s_cmp_lg_u32 s30, 0
	s_mov_b32 s31, 0
	s_cbranch_scc0 .LBB1_12
; %bb.7:
	s_min_u32 s33, s6, 15
	s_add_i32 s33, s33, 1
	s_cmp_eq_u32 s6, 2
	s_cbranch_scc1 .LBB1_13
; %bb.8:
	s_and_b32 s31, s33, 28
	s_add_u32 s6, s26, 0xc4
	s_addc_u32 s7, s27, 0
	s_mov_b32 s34, 0
	v_mov_b32_e32 v6, 0
	s_mov_b64 s[28:29], s[26:27]
	v_mov_b32_e32 v4, v2
.LBB1_9:                                ; =>This Inner Loop Header: Depth=1
	s_load_dwordx8 s[8:15], s[28:29], 0x4
	s_load_dwordx4 s[16:19], s[28:29], 0x24
	s_load_dwordx4 s[20:23], s[6:7], 0x0
	s_add_u32 s28, s28, 48
	s_addc_u32 s29, s29, 0
	s_waitcnt lgkmcnt(0)
	v_mul_hi_u32 v5, s9, v4
	s_add_i32 s34, s34, 4
	s_add_u32 s6, s6, 16
	s_addc_u32 s7, s7, 0
	v_add_u32_e32 v5, v4, v5
	v_lshrrev_b32_e32 v5, s10, v5
	v_mul_lo_u32 v7, v5, s8
	v_mul_hi_u32 v8, s12, v5
	s_cmp_lg_u32 s31, s34
	v_sub_u32_e32 v4, v4, v7
	v_add_u32_e32 v7, v5, v8
	v_lshrrev_b32_e32 v7, s13, v7
	v_mul_lo_u32 v8, v4, s20
	v_mul_hi_u32 v4, s15, v7
	v_mul_lo_u32 v10, v7, s11
	v_add_u32_e32 v4, v7, v4
	v_lshrrev_b32_e32 v9, s16, v4
	v_mul_hi_u32 v4, s18, v9
	v_sub_u32_e32 v5, v5, v10
	v_mul_lo_u32 v10, v9, s14
	v_mul_lo_u32 v5, v5, s21
	v_add_u32_e32 v4, v9, v4
	v_lshrrev_b32_e32 v4, s19, v4
	v_mul_lo_u32 v11, v4, s17
	v_sub_u32_e32 v7, v7, v10
	v_mul_lo_u32 v7, v7, s22
	v_add3_u32 v5, v8, v6, v5
	v_sub_u32_e32 v9, v9, v11
	v_mul_lo_u32 v9, v9, s23
	v_add3_u32 v6, v7, v5, v9
	s_cbranch_scc1 .LBB1_9
; %bb.10:
	s_and_b32 s10, s33, 3
	s_cmp_eq_u32 s10, 0
	s_cbranch_scc0 .LBB1_14
	s_branch .LBB1_16
.LBB1_11:
                                        ; implicit-def: $vgpr6
	s_load_dwordx2 s[6:7], s[4:5], 0x0
	s_load_dwordx4 s[8:11], s[4:5], 0x28
	s_branch .LBB1_17
.LBB1_12:
	v_mov_b32_e32 v6, 0
	s_branch .LBB1_16
.LBB1_13:
	v_mov_b32_e32 v6, 0
	v_mov_b32_e32 v4, v2
	s_and_b32 s10, s33, 3
	s_cmp_eq_u32 s10, 0
	s_cbranch_scc1 .LBB1_16
.LBB1_14:
	s_lshl_b32 s6, s31, 2
	s_add_u32 s6, s26, s6
	s_addc_u32 s7, s27, 0
	s_add_u32 s6, s6, 0xc4
	s_addc_u32 s7, s7, 0
	s_mul_i32 s8, s31, 12
	s_add_u32 s8, s26, s8
	s_addc_u32 s9, s27, 0
.LBB1_15:                               ; =>This Inner Loop Header: Depth=1
	s_load_dwordx2 s[12:13], s[8:9], 0x4
	s_load_dword s11, s[8:9], 0xc
	s_add_u32 s8, s8, 12
	s_addc_u32 s9, s9, 0
	s_waitcnt lgkmcnt(0)
	v_mul_hi_u32 v5, s13, v4
	s_load_dword s13, s[6:7], 0x0
	s_add_u32 s6, s6, 4
	s_addc_u32 s7, s7, 0
	v_add_u32_e32 v5, v4, v5
	v_lshrrev_b32_e32 v5, s11, v5
	v_mul_lo_u32 v7, v5, s12
	s_add_i32 s10, s10, -1
	s_cmp_lg_u32 s10, 0
	v_sub_u32_e32 v4, v4, v7
	s_waitcnt lgkmcnt(0)
	v_mad_u64_u32 v[6:7], s[12:13], v4, s13, v[6:7]
	v_mov_b32_e32 v4, v5
	s_cbranch_scc1 .LBB1_15
.LBB1_16:
	s_load_dwordx2 s[6:7], s[4:5], 0x0
	s_load_dwordx4 s[8:11], s[4:5], 0x28
	s_cbranch_execnz .LBB1_19
.LBB1_17:
	s_load_dwordx4 s[12:15], s[26:27], 0x4
	s_load_dword s4, s[26:27], 0xc4
	s_cmp_lt_u32 s30, 2
	s_waitcnt lgkmcnt(0)
	v_mul_hi_u32 v4, v2, s13
	v_add_u32_e32 v4, v4, v2
	v_lshrrev_b32_e32 v4, s14, v4
	v_mul_lo_u32 v5, v4, s12
	v_sub_u32_e32 v5, v2, v5
	v_mul_lo_u32 v6, v5, s4
	s_cbranch_scc1 .LBB1_19
; %bb.18:
	s_load_dwordx4 s[12:15], s[26:27], 0x10
	s_load_dword s4, s[26:27], 0xc8
	s_waitcnt lgkmcnt(0)
	v_mul_hi_u32 v5, s13, v4
	v_add_u32_e32 v5, v4, v5
	v_lshrrev_b32_e32 v5, s14, v5
	v_mul_lo_u32 v5, v5, s12
	v_sub_u32_e32 v4, v4, v5
	v_mad_u64_u32 v[6:7], s[4:5], v4, s4, v[6:7]
.LBB1_19:
	v_mov_b32_e32 v7, 0
	v_lshlrev_b64 v[4:5], 3, v[6:7]
	v_add_u32_e32 v6, 1, v6
	v_mov_b32_e32 v8, s1
	v_add_co_u32_e32 v4, vcc, s0, v4
	v_lshlrev_b64 v[6:7], 3, v[6:7]
	v_addc_co_u32_e32 v5, vcc, v8, v5, vcc
	v_add_co_u32_e32 v6, vcc, s0, v6
	v_addc_co_u32_e32 v7, vcc, v8, v7, vcc
	global_load_dwordx2 v[4:5], v[4:5], off
	v_mul_lo_u32 v12, v3, s24
	global_load_dwordx2 v[6:7], v[6:7], off
	v_mul_lo_u32 v13, v2, s25
	v_mad_u64_u32 v[8:9], s[0:1], v2, s24, 0
	s_bitcmp1_b32 s2, 0
	s_cselect_b64 s[0:1], -1, 0
	s_lshr_b32 s4, s3, 31
	s_add_u32 s4, s2, s4
	v_mul_lo_u32 v15, v3, s2
	s_addc_u32 s5, s3, 0
	v_add3_u32 v3, v9, v13, v12
	v_sub_co_u32_e32 v12, vcc, v0, v8
	s_ashr_i64 s[4:5], s[4:5], 1
	v_subb_co_u32_e32 v13, vcc, v1, v3, vcc
	v_cmp_le_i64_e32 vcc, s[4:5], v[12:13]
	s_mov_b32 s14, 0xd2511f53
	s_or_b64 s[4:5], s[0:1], vcc
	v_lshlrev_b64 v[8:9], 1, v[12:13]
	s_waitcnt lgkmcnt(0)
	v_mov_b32_e32 v11, s9
	v_mov_b32_e32 v10, s8
	v_mul_lo_u32 v14, v2, s3
	v_mad_u64_u32 v[0:1], s[12:13], v2, s2, v[8:9]
	v_add_f64 v[2:3], s[10:11], -v[10:11]
	s_mov_b32 s15, 0xcd9e8d57
	v_add3_u32 v1, v15, v1, v14
	s_mov_b64 s[0:1], 0
	s_waitcnt vmcnt(1)
	v_add_u32_e32 v11, 0xbb67ae85, v5
	v_add_u32_e32 v10, 0x9e3779b9, v4
	s_waitcnt vmcnt(0)
	v_add_co_u32_e32 v6, vcc, v6, v12
	v_addc_co_u32_e32 v7, vcc, v7, v13, vcc
	v_mul_lo_u32 v13, v6, s14
	v_mul_hi_u32 v6, v6, s14
	v_xor_b32_e32 v7, v7, v4
	v_mul_hi_u32 v19, v7, s14
	v_xor_b32_e32 v11, v13, v11
	v_xor_b32_e32 v6, v6, v5
	v_add_u32_e32 v14, 0x3c6ef372, v4
	v_xor_b32_e32 v11, v11, v19
	v_mul_hi_u32 v19, v6, s15
	v_mul_lo_u32 v6, v6, s15
	v_mul_lo_u32 v7, v7, s14
	v_add_u32_e32 v15, 0x76cf5d0a, v5
	v_xor_b32_e32 v10, v10, v19
	v_mul_hi_u32 v19, v11, s15
	v_xor_b32_e32 v6, v6, v14
	v_xor_b32_e32 v7, v7, v15
	v_add_u32_e32 v17, 0x32370b8f, v5
	v_xor_b32_e32 v6, v6, v19
	v_mul_hi_u32 v19, v10, s14
	v_mul_lo_u32 v10, v10, s14
	v_mul_lo_u32 v11, v11, s15
	v_add_u32_e32 v16, 0xdaa66d2b, v4
	v_xor_b32_e32 v7, v7, v19
	v_mul_hi_u32 v19, v6, s14
	v_xor_b32_e32 v10, v10, v17
	v_xor_b32_e32 v11, v11, v16
	v_add_u32_e32 v18, 0x78dde6e4, v4
	v_xor_b32_e32 v10, v10, v19
	v_mul_hi_u32 v19, v7, s15
	v_mul_lo_u32 v7, v7, s15
	v_mul_lo_u32 v6, v6, s14
	v_add_u32_e32 v12, 0xed9eba14, v5
	v_xor_b32_e32 v11, v11, v19
	v_mul_hi_u32 v19, v10, s15
	v_xor_b32_e32 v7, v7, v18
	v_mul_lo_u32 v10, v10, s15
	v_xor_b32_e32 v6, v6, v12
	v_xor_b32_e32 v7, v7, v19
	v_mul_lo_u32 v19, v11, s14
	v_mul_hi_u32 v11, v11, s14
	v_add_u32_e32 v13, 0x1715609d, v4
	v_add_u32_e32 v15, 0xa9066899, v5
	v_xor_b32_e32 v10, v10, v13
	v_xor_b32_e32 v6, v6, v11
	v_mul_lo_u32 v13, v7, s14
	v_mul_hi_u32 v7, v7, s14
	v_xor_b32_e32 v11, v19, v15
	v_mul_lo_u32 v15, v6, s15
	v_mul_hi_u32 v6, v6, s15
	v_add_u32_e32 v14, 0xb54cda56, v4
	v_add_u32_e32 v16, 0x646e171e, v5
	v_xor_b32_e32 v7, v11, v7
	v_xor_b32_e32 v6, v10, v6
	;; [unrolled: 1-line block ×3, first 2 shown]
	v_mul_lo_u32 v13, v7, s15
	v_mul_hi_u32 v7, v7, s15
	v_xor_b32_e32 v10, v15, v14
	v_mul_hi_u32 v14, v6, s14
	v_mul_lo_u32 v6, v6, s14
	v_xor_b32_e32 v10, v10, v7
	v_add_u32_e32 v17, 0x5384540f, v4
	v_xor_b32_e32 v7, v11, v14
	v_mul_hi_u32 v11, v7, s15
	v_add_u32_e32 v12, 0x1fd5c5a3, v5
	v_xor_b32_e32 v13, v13, v17
	v_mul_lo_u32 v14, v10, s14
	v_mul_hi_u32 v10, v10, s14
	v_xor_b32_e32 v12, v6, v12
	v_xor_b32_e32 v6, v13, v11
	v_mul_hi_u32 v11, v6, s14
	v_add_u32_e32 v18, 0xdb3d7428, v5
	v_xor_b32_e32 v10, v12, v10
	v_xor_b32_e32 v12, v14, v18
	v_mul_lo_u32 v13, v10, s15
	v_xor_b32_e32 v11, v12, v11
	v_mul_hi_u32 v12, v11, s15
	v_mul_lo_u32 v11, v11, s15
	v_add_u32_e32 v14, 0x8ff34781, v4
	v_xor_b32_e32 v13, v13, v14
	v_xor_b32_e32 v12, v13, v12
	s_and_saveexec_b64 s[10:11], s[4:5]
	s_xor_b64 s[4:5], exec, s[10:11]
	s_cbranch_execnz .LBB1_24
; %bb.20:
	s_andn2_saveexec_b64 s[2:3], s[4:5]
	s_cbranch_execnz .LBB1_27
.LBB1_21:
	s_or_b64 exec, exec, s[2:3]
	s_and_b64 exec, exec, s[0:1]
	s_cbranch_execz .LBB1_23
.LBB1_22:
	s_mov_b32 s0, 0xcd9e8d57
	v_mul_lo_u32 v7, v7, s0
	v_mul_hi_u32 v8, v10, s0
	v_add_u32_e32 v4, 0xf1bbcdc8, v4
	s_mov_b32 s0, 0x111f53
	v_xor_b32_e32 v4, v7, v4
	v_mul_lo_u32 v6, v6, s0
	v_xor_b32_e32 v7, v4, v8
	s_mov_b32 s0, 0xd2511f53
	v_mul_hi_u32 v4, v7, s0
	v_add_u32_e32 v5, 0x522ad, v5
	v_xor_b32_e32 v5, v6, v5
	v_mul_lo_u32 v6, v7, s0
	v_xor_b32_e32 v4, v5, v4
	v_and_b32_e32 v4, 0x1fffff, v4
	v_cvt_f64_u32_e32 v[4:5], v4
	v_cvt_f64_u32_e32 v[6:7], v6
	s_movk_i32 s0, 0xffcb
	v_lshlrev_b64 v[0:1], 3, v[0:1]
	v_ldexp_f64 v[4:5], v[4:5], 32
	v_add_co_u32_e32 v0, vcc, s6, v0
	v_add_f64 v[4:5], v[4:5], v[6:7]
	v_ldexp_f64 v[4:5], v[4:5], s0
	v_fma_f64 v[2:3], v[2:3], v[4:5], s[8:9]
	v_mov_b32_e32 v4, s7
	v_addc_co_u32_e32 v1, vcc, v4, v1, vcc
	global_store_dwordx2 v[0:1], v[2:3], off offset:8
.LBB1_23:
	s_endpgm
.LBB1_24:
	v_cmp_gt_i64_e32 vcc, s[2:3], v[8:9]
	s_and_saveexec_b64 s[10:11], vcc
	s_cbranch_execz .LBB1_26
; %bb.25:
	v_and_b32_e32 v12, 0x1fffff, v12
	v_cvt_f64_u32_e32 v[12:13], v12
	v_cvt_f64_u32_e32 v[14:15], v11
	s_movk_i32 s0, 0xffcb
	v_or_b32_e32 v8, 1, v8
	v_ldexp_f64 v[12:13], v[12:13], 32
	v_cmp_gt_u64_e32 vcc, s[2:3], v[8:9]
	v_add_f64 v[11:12], v[12:13], v[14:15]
	v_lshlrev_b64 v[13:14], 3, v[0:1]
	v_mov_b32_e32 v15, s7
	v_ldexp_f64 v[11:12], v[11:12], s0
	v_add_co_u32_e64 v8, s[0:1], s6, v13
	v_addc_co_u32_e64 v9, s[0:1], v15, v14, s[0:1]
	s_and_b64 s[0:1], vcc, exec
	v_fma_f64 v[11:12], v[2:3], v[11:12], s[8:9]
	global_store_dwordx2 v[8:9], v[11:12], off
.LBB1_26:
	s_or_b64 exec, exec, s[10:11]
	s_and_b64 s[0:1], s[0:1], exec
                                        ; implicit-def: $vgpr12
                                        ; implicit-def: $vgpr11
	s_andn2_saveexec_b64 s[2:3], s[4:5]
	s_cbranch_execz .LBB1_21
.LBB1_27:
	v_and_b32_e32 v8, 0x1fffff, v12
	v_cvt_f64_u32_e32 v[8:9], v8
	v_cvt_f64_u32_e32 v[11:12], v11
	s_movk_i32 s4, 0xffcb
	v_mov_b32_e32 v13, s7
	v_ldexp_f64 v[8:9], v[8:9], 32
	s_or_b64 s[0:1], s[0:1], exec
	v_add_f64 v[8:9], v[8:9], v[11:12]
	v_lshlrev_b64 v[11:12], 3, v[0:1]
	v_add_co_u32_e32 v11, vcc, s6, v11
	v_addc_co_u32_e32 v12, vcc, v13, v12, vcc
	v_ldexp_f64 v[8:9], v[8:9], s4
	v_fma_f64 v[8:9], v[2:3], v[8:9], s[8:9]
	global_store_dwordx2 v[11:12], v[8:9], off
	s_or_b64 exec, exec, s[2:3]
	s_and_b64 exec, exec, s[0:1]
	s_cbranch_execnz .LBB1_22
	s_branch .LBB1_23
	.section	.rodata,"a",@progbits
	.p2align	6, 0x0
	.amdhsa_kernel _ZN2at6native12_GLOBAL__N_123philox_multi_key_kernelIdZZZZNS0_21_philox_uniform_cuda_ERNS_6TensorERKS3_ddENKUlvE_clEvENKUlvE_clEvENKUlvE_clEvEUlmmE_ZZZNS0_21_philox_uniform_cuda_ES4_S6_ddENKS7_clEvENKS8_clEvEUlT_E_EEvPSB_PKmllT0_T1_16OffsetCalculatorILi1EjLb0EE
		.amdhsa_group_segment_fixed_size 0
		.amdhsa_private_segment_fixed_size 0
		.amdhsa_kernarg_size 576
		.amdhsa_user_sgpr_count 6
		.amdhsa_user_sgpr_private_segment_buffer 1
		.amdhsa_user_sgpr_dispatch_ptr 0
		.amdhsa_user_sgpr_queue_ptr 0
		.amdhsa_user_sgpr_kernarg_segment_ptr 1
		.amdhsa_user_sgpr_dispatch_id 0
		.amdhsa_user_sgpr_flat_scratch_init 0
		.amdhsa_user_sgpr_private_segment_size 0
		.amdhsa_uses_dynamic_stack 0
		.amdhsa_system_sgpr_private_segment_wavefront_offset 0
		.amdhsa_system_sgpr_workgroup_id_x 1
		.amdhsa_system_sgpr_workgroup_id_y 0
		.amdhsa_system_sgpr_workgroup_id_z 0
		.amdhsa_system_sgpr_workgroup_info 0
		.amdhsa_system_vgpr_workitem_id 0
		.amdhsa_next_free_vgpr 20
		.amdhsa_next_free_sgpr 35
		.amdhsa_reserve_vcc 1
		.amdhsa_reserve_flat_scratch 0
		.amdhsa_float_round_mode_32 0
		.amdhsa_float_round_mode_16_64 0
		.amdhsa_float_denorm_mode_32 3
		.amdhsa_float_denorm_mode_16_64 3
		.amdhsa_dx10_clamp 1
		.amdhsa_ieee_mode 1
		.amdhsa_fp16_overflow 0
		.amdhsa_exception_fp_ieee_invalid_op 0
		.amdhsa_exception_fp_denorm_src 0
		.amdhsa_exception_fp_ieee_div_zero 0
		.amdhsa_exception_fp_ieee_overflow 0
		.amdhsa_exception_fp_ieee_underflow 0
		.amdhsa_exception_fp_ieee_inexact 0
		.amdhsa_exception_int_div_zero 0
	.end_amdhsa_kernel
	.section	.text._ZN2at6native12_GLOBAL__N_123philox_multi_key_kernelIdZZZZNS0_21_philox_uniform_cuda_ERNS_6TensorERKS3_ddENKUlvE_clEvENKUlvE_clEvENKUlvE_clEvEUlmmE_ZZZNS0_21_philox_uniform_cuda_ES4_S6_ddENKS7_clEvENKS8_clEvEUlT_E_EEvPSB_PKmllT0_T1_16OffsetCalculatorILi1EjLb0EE,"axG",@progbits,_ZN2at6native12_GLOBAL__N_123philox_multi_key_kernelIdZZZZNS0_21_philox_uniform_cuda_ERNS_6TensorERKS3_ddENKUlvE_clEvENKUlvE_clEvENKUlvE_clEvEUlmmE_ZZZNS0_21_philox_uniform_cuda_ES4_S6_ddENKS7_clEvENKS8_clEvEUlT_E_EEvPSB_PKmllT0_T1_16OffsetCalculatorILi1EjLb0EE,comdat
.Lfunc_end1:
	.size	_ZN2at6native12_GLOBAL__N_123philox_multi_key_kernelIdZZZZNS0_21_philox_uniform_cuda_ERNS_6TensorERKS3_ddENKUlvE_clEvENKUlvE_clEvENKUlvE_clEvEUlmmE_ZZZNS0_21_philox_uniform_cuda_ES4_S6_ddENKS7_clEvENKS8_clEvEUlT_E_EEvPSB_PKmllT0_T1_16OffsetCalculatorILi1EjLb0EE, .Lfunc_end1-_ZN2at6native12_GLOBAL__N_123philox_multi_key_kernelIdZZZZNS0_21_philox_uniform_cuda_ERNS_6TensorERKS3_ddENKUlvE_clEvENKUlvE_clEvENKUlvE_clEvEUlmmE_ZZZNS0_21_philox_uniform_cuda_ES4_S6_ddENKS7_clEvENKS8_clEvEUlT_E_EEvPSB_PKmllT0_T1_16OffsetCalculatorILi1EjLb0EE
                                        ; -- End function
	.set _ZN2at6native12_GLOBAL__N_123philox_multi_key_kernelIdZZZZNS0_21_philox_uniform_cuda_ERNS_6TensorERKS3_ddENKUlvE_clEvENKUlvE_clEvENKUlvE_clEvEUlmmE_ZZZNS0_21_philox_uniform_cuda_ES4_S6_ddENKS7_clEvENKS8_clEvEUlT_E_EEvPSB_PKmllT0_T1_16OffsetCalculatorILi1EjLb0EE.num_vgpr, 20
	.set _ZN2at6native12_GLOBAL__N_123philox_multi_key_kernelIdZZZZNS0_21_philox_uniform_cuda_ERNS_6TensorERKS3_ddENKUlvE_clEvENKUlvE_clEvENKUlvE_clEvEUlmmE_ZZZNS0_21_philox_uniform_cuda_ES4_S6_ddENKS7_clEvENKS8_clEvEUlT_E_EEvPSB_PKmllT0_T1_16OffsetCalculatorILi1EjLb0EE.num_agpr, 0
	.set _ZN2at6native12_GLOBAL__N_123philox_multi_key_kernelIdZZZZNS0_21_philox_uniform_cuda_ERNS_6TensorERKS3_ddENKUlvE_clEvENKUlvE_clEvENKUlvE_clEvEUlmmE_ZZZNS0_21_philox_uniform_cuda_ES4_S6_ddENKS7_clEvENKS8_clEvEUlT_E_EEvPSB_PKmllT0_T1_16OffsetCalculatorILi1EjLb0EE.numbered_sgpr, 35
	.set _ZN2at6native12_GLOBAL__N_123philox_multi_key_kernelIdZZZZNS0_21_philox_uniform_cuda_ERNS_6TensorERKS3_ddENKUlvE_clEvENKUlvE_clEvENKUlvE_clEvEUlmmE_ZZZNS0_21_philox_uniform_cuda_ES4_S6_ddENKS7_clEvENKS8_clEvEUlT_E_EEvPSB_PKmllT0_T1_16OffsetCalculatorILi1EjLb0EE.num_named_barrier, 0
	.set _ZN2at6native12_GLOBAL__N_123philox_multi_key_kernelIdZZZZNS0_21_philox_uniform_cuda_ERNS_6TensorERKS3_ddENKUlvE_clEvENKUlvE_clEvENKUlvE_clEvEUlmmE_ZZZNS0_21_philox_uniform_cuda_ES4_S6_ddENKS7_clEvENKS8_clEvEUlT_E_EEvPSB_PKmllT0_T1_16OffsetCalculatorILi1EjLb0EE.private_seg_size, 0
	.set _ZN2at6native12_GLOBAL__N_123philox_multi_key_kernelIdZZZZNS0_21_philox_uniform_cuda_ERNS_6TensorERKS3_ddENKUlvE_clEvENKUlvE_clEvENKUlvE_clEvEUlmmE_ZZZNS0_21_philox_uniform_cuda_ES4_S6_ddENKS7_clEvENKS8_clEvEUlT_E_EEvPSB_PKmllT0_T1_16OffsetCalculatorILi1EjLb0EE.uses_vcc, 1
	.set _ZN2at6native12_GLOBAL__N_123philox_multi_key_kernelIdZZZZNS0_21_philox_uniform_cuda_ERNS_6TensorERKS3_ddENKUlvE_clEvENKUlvE_clEvENKUlvE_clEvEUlmmE_ZZZNS0_21_philox_uniform_cuda_ES4_S6_ddENKS7_clEvENKS8_clEvEUlT_E_EEvPSB_PKmllT0_T1_16OffsetCalculatorILi1EjLb0EE.uses_flat_scratch, 0
	.set _ZN2at6native12_GLOBAL__N_123philox_multi_key_kernelIdZZZZNS0_21_philox_uniform_cuda_ERNS_6TensorERKS3_ddENKUlvE_clEvENKUlvE_clEvENKUlvE_clEvEUlmmE_ZZZNS0_21_philox_uniform_cuda_ES4_S6_ddENKS7_clEvENKS8_clEvEUlT_E_EEvPSB_PKmllT0_T1_16OffsetCalculatorILi1EjLb0EE.has_dyn_sized_stack, 0
	.set _ZN2at6native12_GLOBAL__N_123philox_multi_key_kernelIdZZZZNS0_21_philox_uniform_cuda_ERNS_6TensorERKS3_ddENKUlvE_clEvENKUlvE_clEvENKUlvE_clEvEUlmmE_ZZZNS0_21_philox_uniform_cuda_ES4_S6_ddENKS7_clEvENKS8_clEvEUlT_E_EEvPSB_PKmllT0_T1_16OffsetCalculatorILi1EjLb0EE.has_recursion, 0
	.set _ZN2at6native12_GLOBAL__N_123philox_multi_key_kernelIdZZZZNS0_21_philox_uniform_cuda_ERNS_6TensorERKS3_ddENKUlvE_clEvENKUlvE_clEvENKUlvE_clEvEUlmmE_ZZZNS0_21_philox_uniform_cuda_ES4_S6_ddENKS7_clEvENKS8_clEvEUlT_E_EEvPSB_PKmllT0_T1_16OffsetCalculatorILi1EjLb0EE.has_indirect_call, 0
	.section	.AMDGPU.csdata,"",@progbits
; Kernel info:
; codeLenInByte = 2700
; TotalNumSgprs: 39
; NumVgprs: 20
; ScratchSize: 0
; MemoryBound: 0
; FloatMode: 240
; IeeeMode: 1
; LDSByteSize: 0 bytes/workgroup (compile time only)
; SGPRBlocks: 4
; VGPRBlocks: 4
; NumSGPRsForWavesPerEU: 39
; NumVGPRsForWavesPerEU: 20
; Occupancy: 10
; WaveLimiterHint : 1
; COMPUTE_PGM_RSRC2:SCRATCH_EN: 0
; COMPUTE_PGM_RSRC2:USER_SGPR: 6
; COMPUTE_PGM_RSRC2:TRAP_HANDLER: 0
; COMPUTE_PGM_RSRC2:TGID_X_EN: 1
; COMPUTE_PGM_RSRC2:TGID_Y_EN: 0
; COMPUTE_PGM_RSRC2:TGID_Z_EN: 0
; COMPUTE_PGM_RSRC2:TIDIG_COMP_CNT: 0
	.section	.text._ZN2at6native12_GLOBAL__N_124philox_single_key_kernelIfZZZZNS0_21_philox_uniform_cuda_ERNS_6TensorERKS3_ddENKUlvE_clEvENKUlvE0_clEvENKUlvE_clEvEUlmmE0_ZZZNS0_21_philox_uniform_cuda_ES4_S6_ddENKS7_clEvENKS8_clEvEUlT_E_EEvPSB_PKmlT0_T1_,"axG",@progbits,_ZN2at6native12_GLOBAL__N_124philox_single_key_kernelIfZZZZNS0_21_philox_uniform_cuda_ERNS_6TensorERKS3_ddENKUlvE_clEvENKUlvE0_clEvENKUlvE_clEvEUlmmE0_ZZZNS0_21_philox_uniform_cuda_ES4_S6_ddENKS7_clEvENKS8_clEvEUlT_E_EEvPSB_PKmlT0_T1_,comdat
	.globl	_ZN2at6native12_GLOBAL__N_124philox_single_key_kernelIfZZZZNS0_21_philox_uniform_cuda_ERNS_6TensorERKS3_ddENKUlvE_clEvENKUlvE0_clEvENKUlvE_clEvEUlmmE0_ZZZNS0_21_philox_uniform_cuda_ES4_S6_ddENKS7_clEvENKS8_clEvEUlT_E_EEvPSB_PKmlT0_T1_ ; -- Begin function _ZN2at6native12_GLOBAL__N_124philox_single_key_kernelIfZZZZNS0_21_philox_uniform_cuda_ERNS_6TensorERKS3_ddENKUlvE_clEvENKUlvE0_clEvENKUlvE_clEvEUlmmE0_ZZZNS0_21_philox_uniform_cuda_ES4_S6_ddENKS7_clEvENKS8_clEvEUlT_E_EEvPSB_PKmlT0_T1_
	.p2align	8
	.type	_ZN2at6native12_GLOBAL__N_124philox_single_key_kernelIfZZZZNS0_21_philox_uniform_cuda_ERNS_6TensorERKS3_ddENKUlvE_clEvENKUlvE0_clEvENKUlvE_clEvEUlmmE0_ZZZNS0_21_philox_uniform_cuda_ES4_S6_ddENKS7_clEvENKS8_clEvEUlT_E_EEvPSB_PKmlT0_T1_,@function
_ZN2at6native12_GLOBAL__N_124philox_single_key_kernelIfZZZZNS0_21_philox_uniform_cuda_ERNS_6TensorERKS3_ddENKUlvE_clEvENKUlvE0_clEvENKUlvE_clEvEUlmmE0_ZZZNS0_21_philox_uniform_cuda_ES4_S6_ddENKS7_clEvENKS8_clEvEUlT_E_EEvPSB_PKmlT0_T1_: ; @_ZN2at6native12_GLOBAL__N_124philox_single_key_kernelIfZZZZNS0_21_philox_uniform_cuda_ERNS_6TensorERKS3_ddENKUlvE_clEvENKUlvE0_clEvENKUlvE_clEvEUlmmE0_ZZZNS0_21_philox_uniform_cuda_ES4_S6_ddENKS7_clEvENKS8_clEvEUlT_E_EEvPSB_PKmlT0_T1_
; %bb.0:
	s_load_dwordx2 s[14:15], s[6:7], 0x10
	s_load_dwordx4 s[0:3], s[6:7], 0x0
	s_load_dwordx2 s[12:13], s[6:7], 0x1c
	s_load_dword s9, s[6:7], 0x34
	v_mov_b32_e32 v3, v1
	s_waitcnt lgkmcnt(0)
	s_ashr_i32 s6, s15, 31
	s_lshr_b32 s6, s6, 30
	s_add_u32 s6, s14, s6
	s_addc_u32 s7, s15, 0
	s_and_b32 s9, s9, 0xffff
	v_mov_b32_e32 v1, 0
	v_mov_b32_e32 v4, s8
	v_mad_u64_u32 v[4:5], s[8:9], s9, v4, v[0:1]
	s_load_dwordx4 s[8:11], s[2:3], 0x0
	s_ashr_i64 s[2:3], s[6:7], 2
	v_cmp_gt_i64_e32 vcc, s[2:3], v[4:5]
	s_and_saveexec_b64 s[6:7], vcc
	s_cbranch_execz .LBB2_2
; %bb.1:
	s_waitcnt lgkmcnt(0)
	v_add_co_u32_e32 v6, vcc, s10, v4
	s_mov_b32 s16, 0xd2511f53
	v_mul_hi_u32 v7, v6, s16
	v_mov_b32_e32 v1, s11
	v_addc_co_u32_e32 v1, vcc, v5, v1, vcc
	v_xor_b32_e32 v7, s9, v7
	s_mov_b32 s20, 0xcd9e8d57
	v_mul_lo_u32 v6, v6, s16
	v_xor_b32_e32 v1, s8, v1
	v_mul_hi_u32 v8, v7, s20
	v_mul_lo_u32 v9, v1, s16
	v_mul_hi_u32 v1, v1, s16
	s_add_i32 s18, s8, 0x9e3779b9
	s_add_i32 s19, s9, 0xbb67ae85
	v_xor_b32_e32 v8, s18, v8
	v_xor_b32_e32 v6, s19, v6
	v_mul_lo_u32 v7, v7, s20
	v_xor_b32_e32 v1, v6, v1
	v_mul_lo_u32 v6, v8, s16
	v_mul_hi_u32 v8, v8, s16
	v_mul_hi_u32 v10, v1, s20
	s_add_i32 s19, s9, 0x76cf5d0a
	s_add_i32 s18, s8, 0x3c6ef372
	v_xor_b32_e32 v9, s19, v9
	v_mul_lo_u32 v1, v1, s20
	v_xor_b32_e32 v7, s18, v7
	v_xor_b32_e32 v8, v9, v8
	v_xor_b32_e32 v7, v7, v10
	v_mul_hi_u32 v10, v8, s20
	v_mul_lo_u32 v9, v7, s16
	v_mul_hi_u32 v7, v7, s16
	s_add_i32 s18, s8, 0xdaa66d2b
	s_add_i32 s19, s9, 0x32370b8f
	v_xor_b32_e32 v1, s18, v1
	v_xor_b32_e32 v1, v1, v10
	v_xor_b32_e32 v6, s19, v6
	v_mul_lo_u32 v8, v8, s20
	v_xor_b32_e32 v6, v6, v7
	v_mul_lo_u32 v7, v1, s16
	v_mul_hi_u32 v1, v1, s16
	v_mul_hi_u32 v10, v6, s20
	s_add_i32 s19, s9, 0xed9eba14
	s_add_i32 s18, s8, 0x78dde6e4
	v_xor_b32_e32 v9, s19, v9
	v_mul_lo_u32 v6, v6, s20
	v_xor_b32_e32 v8, s18, v8
	v_xor_b32_e32 v1, v9, v1
	v_xor_b32_e32 v8, v8, v10
	v_mul_hi_u32 v10, v1, s20
	v_mul_lo_u32 v9, v8, s16
	v_mul_hi_u32 v8, v8, s16
	s_add_i32 s18, s8, 0x1715609d
	s_add_i32 s19, s9, 0xa9066899
	v_xor_b32_e32 v6, s18, v6
	;; [unrolled: 20-line block ×3, first 2 shown]
	v_xor_b32_e32 v7, v7, v10
	v_xor_b32_e32 v8, s19, v8
	s_mov_b32 s21, 0x511f53
	v_mul_lo_u32 v6, v6, s20
	v_xor_b32_e32 v1, v8, v1
	v_mul_lo_u32 v8, v7, s21
	v_mul_hi_u32 v7, v7, s16
	v_mul_hi_u32 v10, v1, s20
	s_add_i32 s19, s9, 0xdb3d7428
	s_add_i32 s18, s8, 0xf1bbcdc8
	s_mov_b32 s22, 0x9e8d57
	v_xor_b32_e32 v9, s19, v9
	v_mul_lo_u32 v1, v1, s22
	v_xor_b32_e32 v6, s18, v6
	v_xor_b32_e32 v7, v9, v7
	;; [unrolled: 1-line block ×3, first 2 shown]
	v_mul_hi_u32 v10, v7, s20
	s_add_i32 s17, s8, 0xf34781
	v_mul_lo_u32 v7, v7, s22
	v_xor_b32_e32 v1, s17, v1
	v_xor_b32_e32 v1, v1, v10
	v_mul_lo_u32 v9, v6, s21
	v_mul_hi_u32 v6, v6, s16
	v_and_b32_e32 v1, 0xffffff, v1
	v_cvt_f32_u32_e32 v1, v1
	v_and_b32_e32 v7, 0xffffff, v7
	s_add_i32 s18, s9, 0xa522ad
	v_cvt_f32_u32_e32 v7, v7
	v_xor_b32_e32 v8, s18, v8
	v_xor_b32_e32 v8, v8, v6
	v_mov_b32_e32 v6, s12
	v_sub_f32_e32 v10, s13, v6
	v_mul_f32_e32 v1, 0x33800000, v1
	v_fma_f32 v6, v10, v1, s12
	v_mul_f32_e32 v1, 0x33800000, v7
	v_and_b32_e32 v7, 0xffffff, v8
	v_cvt_f32_u32_e32 v8, v7
	v_and_b32_e32 v7, 0xffffff, v9
	v_cvt_f32_u32_e32 v9, v7
	v_fma_f32 v7, v10, v1, s12
	v_mul_f32_e32 v1, 0x33800000, v8
	v_fma_f32 v8, v10, v1, s12
	v_mul_f32_e32 v1, 0x33800000, v9
	v_fma_f32 v9, v10, v1, s12
	v_lshlrev_b64 v[10:11], 4, v[4:5]
	v_mov_b32_e32 v1, s1
	v_add_co_u32_e32 v10, vcc, s0, v10
	v_addc_co_u32_e32 v11, vcc, v1, v11, vcc
	global_store_dwordx4 v[10:11], v[6:9], off
.LBB2_2:
	s_or_b64 exec, exec, s[6:7]
	v_cmp_eq_u64_e32 vcc, s[2:3], v[4:5]
	s_and_saveexec_b64 s[6:7], vcc
	s_cbranch_execz .LBB2_6
; %bb.3:
	s_load_dwordx2 s[6:7], s[4:5], 0x4
	s_lshl_b64 s[4:5], s[2:3], 2
	s_waitcnt lgkmcnt(0)
	s_lshr_b32 s6, s6, 16
	s_mul_i32 s6, s6, s7
	v_mul_lo_u32 v0, s6, v0
	s_add_u32 s2, s10, s2
	s_addc_u32 s6, s11, s3
	s_mul_hi_u32 s3, s2, 0xd2511f53
	s_mul_i32 s11, s2, 0xd2511f53
	s_xor_b64 s[2:3], s[2:3], s[8:9]
	s_xor_b32 s6, s6, s8
	v_mad_u32_u24 v0, v3, s7, v0
	s_add_i32 s2, s8, 0x9e3779b9
	s_add_i32 s7, s9, 0xbb67ae85
	s_mul_i32 s17, s3, 0xcd9e8d57
	s_mul_hi_u32 s3, s3, 0xcd9e8d57
	s_mul_i32 s16, s6, 0xd2511f53
	s_mul_hi_u32 s6, s6, 0xd2511f53
	s_xor_b32 s2, s2, s3
	s_xor_b32 s3, s11, s7
	s_xor_b32 s3, s3, s6
	s_add_i32 s6, s8, 0x3c6ef372
	s_add_i32 s7, s9, 0x76cf5d0a
	s_mul_i32 s18, s3, 0xcd9e8d57
	s_mul_hi_u32 s3, s3, 0xcd9e8d57
	s_xor_b32 s6, s17, s6
	s_mul_i32 s11, s2, 0xd2511f53
	s_mul_hi_u32 s2, s2, 0xd2511f53
	s_xor_b32 s3, s6, s3
	s_xor_b32 s6, s16, s7
	s_xor_b32 s2, s6, s2
	s_add_i32 s6, s8, 0xdaa66d2b
	s_add_i32 s7, s9, 0x32370b8f
	s_mul_i32 s17, s2, 0xcd9e8d57
	s_mul_hi_u32 s2, s2, 0xcd9e8d57
	s_xor_b32 s6, s18, s6
	;; [unrolled: 10-line block ×7, first 2 shown]
	s_add_i32 s10, s8, 0x8ff34781
	s_mul_i32 s8, s2, 0xd2511f53
	s_mul_hi_u32 s2, s2, 0xd2511f53
	s_xor_b32 s3, s6, s3
	s_xor_b32 s6, s16, s7
	;; [unrolled: 1-line block ×3, first 2 shown]
	s_add_i32 s6, s9, 0x96a522ad
	s_mul_i32 s7, s3, 0xd2511f53
	s_mul_hi_u32 s3, s3, 0xd2511f53
	s_mul_i32 s9, s2, 0xcd9e8d57
	s_mul_hi_u32 s2, s2, 0xcd9e8d57
	s_xor_b32 s10, s11, s10
	s_xor_b32 s6, s8, s6
	;; [unrolled: 1-line block ×4, first 2 shown]
	v_mov_b32_e32 v1, s2
	s_sub_u32 s2, s14, s4
	v_mov_b32_e32 v3, s3
	s_subb_u32 s3, s15, s5
	v_mov_b32_e32 v4, s7
	v_cmp_lt_i64_e64 s[6:7], s[2:3], 1
	v_add_lshl_u32 v0, v0, v2, 4
	v_mov_b32_e32 v2, s9
	s_and_b64 vcc, exec, s[6:7]
	ds_write_b128 v0, v[1:4]
	s_cbranch_vccnz .LBB2_6
; %bb.4:
	s_lshl_b64 s[4:5], s[4:5], 2
	v_mov_b32_e32 v1, s12
	s_add_u32 s0, s0, s4
	v_sub_f32_e32 v1, s13, v1
	s_addc_u32 s1, s1, s5
	s_mov_b64 s[4:5], 0
	v_mov_b32_e32 v2, 0
.LBB2_5:                                ; =>This Inner Loop Header: Depth=1
	ds_read_b32 v5, v0
	s_add_u32 s4, s4, 1
	s_addc_u32 s5, s5, 0
	v_mov_b32_e32 v3, s4
	v_mov_b32_e32 v4, s5
	s_waitcnt lgkmcnt(0)
	v_and_b32_e32 v5, 0xffffff, v5
	v_cvt_f32_u32_e32 v5, v5
	v_cmp_gt_i64_e32 vcc, s[2:3], v[3:4]
	v_add_u32_e32 v0, 4, v0
	v_mul_f32_e32 v3, 0x33800000, v5
	v_fma_f32 v3, v1, v3, s12
	global_store_dword v2, v3, s[0:1]
	s_add_u32 s0, s0, 4
	s_addc_u32 s1, s1, 0
	s_cbranch_vccnz .LBB2_5
.LBB2_6:
	s_endpgm
	.section	.rodata,"a",@progbits
	.p2align	6, 0x0
	.amdhsa_kernel _ZN2at6native12_GLOBAL__N_124philox_single_key_kernelIfZZZZNS0_21_philox_uniform_cuda_ERNS_6TensorERKS3_ddENKUlvE_clEvENKUlvE0_clEvENKUlvE_clEvEUlmmE0_ZZZNS0_21_philox_uniform_cuda_ES4_S6_ddENKS7_clEvENKS8_clEvEUlT_E_EEvPSB_PKmlT0_T1_
		.amdhsa_group_segment_fixed_size 16384
		.amdhsa_private_segment_fixed_size 0
		.amdhsa_kernarg_size 296
		.amdhsa_user_sgpr_count 8
		.amdhsa_user_sgpr_private_segment_buffer 1
		.amdhsa_user_sgpr_dispatch_ptr 1
		.amdhsa_user_sgpr_queue_ptr 0
		.amdhsa_user_sgpr_kernarg_segment_ptr 1
		.amdhsa_user_sgpr_dispatch_id 0
		.amdhsa_user_sgpr_flat_scratch_init 0
		.amdhsa_user_sgpr_private_segment_size 0
		.amdhsa_uses_dynamic_stack 0
		.amdhsa_system_sgpr_private_segment_wavefront_offset 0
		.amdhsa_system_sgpr_workgroup_id_x 1
		.amdhsa_system_sgpr_workgroup_id_y 0
		.amdhsa_system_sgpr_workgroup_id_z 0
		.amdhsa_system_sgpr_workgroup_info 0
		.amdhsa_system_vgpr_workitem_id 2
		.amdhsa_next_free_vgpr 12
		.amdhsa_next_free_sgpr 23
		.amdhsa_reserve_vcc 1
		.amdhsa_reserve_flat_scratch 0
		.amdhsa_float_round_mode_32 0
		.amdhsa_float_round_mode_16_64 0
		.amdhsa_float_denorm_mode_32 3
		.amdhsa_float_denorm_mode_16_64 3
		.amdhsa_dx10_clamp 1
		.amdhsa_ieee_mode 1
		.amdhsa_fp16_overflow 0
		.amdhsa_exception_fp_ieee_invalid_op 0
		.amdhsa_exception_fp_denorm_src 0
		.amdhsa_exception_fp_ieee_div_zero 0
		.amdhsa_exception_fp_ieee_overflow 0
		.amdhsa_exception_fp_ieee_underflow 0
		.amdhsa_exception_fp_ieee_inexact 0
		.amdhsa_exception_int_div_zero 0
	.end_amdhsa_kernel
	.section	.text._ZN2at6native12_GLOBAL__N_124philox_single_key_kernelIfZZZZNS0_21_philox_uniform_cuda_ERNS_6TensorERKS3_ddENKUlvE_clEvENKUlvE0_clEvENKUlvE_clEvEUlmmE0_ZZZNS0_21_philox_uniform_cuda_ES4_S6_ddENKS7_clEvENKS8_clEvEUlT_E_EEvPSB_PKmlT0_T1_,"axG",@progbits,_ZN2at6native12_GLOBAL__N_124philox_single_key_kernelIfZZZZNS0_21_philox_uniform_cuda_ERNS_6TensorERKS3_ddENKUlvE_clEvENKUlvE0_clEvENKUlvE_clEvEUlmmE0_ZZZNS0_21_philox_uniform_cuda_ES4_S6_ddENKS7_clEvENKS8_clEvEUlT_E_EEvPSB_PKmlT0_T1_,comdat
.Lfunc_end2:
	.size	_ZN2at6native12_GLOBAL__N_124philox_single_key_kernelIfZZZZNS0_21_philox_uniform_cuda_ERNS_6TensorERKS3_ddENKUlvE_clEvENKUlvE0_clEvENKUlvE_clEvEUlmmE0_ZZZNS0_21_philox_uniform_cuda_ES4_S6_ddENKS7_clEvENKS8_clEvEUlT_E_EEvPSB_PKmlT0_T1_, .Lfunc_end2-_ZN2at6native12_GLOBAL__N_124philox_single_key_kernelIfZZZZNS0_21_philox_uniform_cuda_ERNS_6TensorERKS3_ddENKUlvE_clEvENKUlvE0_clEvENKUlvE_clEvEUlmmE0_ZZZNS0_21_philox_uniform_cuda_ES4_S6_ddENKS7_clEvENKS8_clEvEUlT_E_EEvPSB_PKmlT0_T1_
                                        ; -- End function
	.set _ZN2at6native12_GLOBAL__N_124philox_single_key_kernelIfZZZZNS0_21_philox_uniform_cuda_ERNS_6TensorERKS3_ddENKUlvE_clEvENKUlvE0_clEvENKUlvE_clEvEUlmmE0_ZZZNS0_21_philox_uniform_cuda_ES4_S6_ddENKS7_clEvENKS8_clEvEUlT_E_EEvPSB_PKmlT0_T1_.num_vgpr, 12
	.set _ZN2at6native12_GLOBAL__N_124philox_single_key_kernelIfZZZZNS0_21_philox_uniform_cuda_ERNS_6TensorERKS3_ddENKUlvE_clEvENKUlvE0_clEvENKUlvE_clEvEUlmmE0_ZZZNS0_21_philox_uniform_cuda_ES4_S6_ddENKS7_clEvENKS8_clEvEUlT_E_EEvPSB_PKmlT0_T1_.num_agpr, 0
	.set _ZN2at6native12_GLOBAL__N_124philox_single_key_kernelIfZZZZNS0_21_philox_uniform_cuda_ERNS_6TensorERKS3_ddENKUlvE_clEvENKUlvE0_clEvENKUlvE_clEvEUlmmE0_ZZZNS0_21_philox_uniform_cuda_ES4_S6_ddENKS7_clEvENKS8_clEvEUlT_E_EEvPSB_PKmlT0_T1_.numbered_sgpr, 23
	.set _ZN2at6native12_GLOBAL__N_124philox_single_key_kernelIfZZZZNS0_21_philox_uniform_cuda_ERNS_6TensorERKS3_ddENKUlvE_clEvENKUlvE0_clEvENKUlvE_clEvEUlmmE0_ZZZNS0_21_philox_uniform_cuda_ES4_S6_ddENKS7_clEvENKS8_clEvEUlT_E_EEvPSB_PKmlT0_T1_.num_named_barrier, 0
	.set _ZN2at6native12_GLOBAL__N_124philox_single_key_kernelIfZZZZNS0_21_philox_uniform_cuda_ERNS_6TensorERKS3_ddENKUlvE_clEvENKUlvE0_clEvENKUlvE_clEvEUlmmE0_ZZZNS0_21_philox_uniform_cuda_ES4_S6_ddENKS7_clEvENKS8_clEvEUlT_E_EEvPSB_PKmlT0_T1_.private_seg_size, 0
	.set _ZN2at6native12_GLOBAL__N_124philox_single_key_kernelIfZZZZNS0_21_philox_uniform_cuda_ERNS_6TensorERKS3_ddENKUlvE_clEvENKUlvE0_clEvENKUlvE_clEvEUlmmE0_ZZZNS0_21_philox_uniform_cuda_ES4_S6_ddENKS7_clEvENKS8_clEvEUlT_E_EEvPSB_PKmlT0_T1_.uses_vcc, 1
	.set _ZN2at6native12_GLOBAL__N_124philox_single_key_kernelIfZZZZNS0_21_philox_uniform_cuda_ERNS_6TensorERKS3_ddENKUlvE_clEvENKUlvE0_clEvENKUlvE_clEvEUlmmE0_ZZZNS0_21_philox_uniform_cuda_ES4_S6_ddENKS7_clEvENKS8_clEvEUlT_E_EEvPSB_PKmlT0_T1_.uses_flat_scratch, 0
	.set _ZN2at6native12_GLOBAL__N_124philox_single_key_kernelIfZZZZNS0_21_philox_uniform_cuda_ERNS_6TensorERKS3_ddENKUlvE_clEvENKUlvE0_clEvENKUlvE_clEvEUlmmE0_ZZZNS0_21_philox_uniform_cuda_ES4_S6_ddENKS7_clEvENKS8_clEvEUlT_E_EEvPSB_PKmlT0_T1_.has_dyn_sized_stack, 0
	.set _ZN2at6native12_GLOBAL__N_124philox_single_key_kernelIfZZZZNS0_21_philox_uniform_cuda_ERNS_6TensorERKS3_ddENKUlvE_clEvENKUlvE0_clEvENKUlvE_clEvEUlmmE0_ZZZNS0_21_philox_uniform_cuda_ES4_S6_ddENKS7_clEvENKS8_clEvEUlT_E_EEvPSB_PKmlT0_T1_.has_recursion, 0
	.set _ZN2at6native12_GLOBAL__N_124philox_single_key_kernelIfZZZZNS0_21_philox_uniform_cuda_ERNS_6TensorERKS3_ddENKUlvE_clEvENKUlvE0_clEvENKUlvE_clEvEUlmmE0_ZZZNS0_21_philox_uniform_cuda_ES4_S6_ddENKS7_clEvENKS8_clEvEUlT_E_EEvPSB_PKmlT0_T1_.has_indirect_call, 0
	.section	.AMDGPU.csdata,"",@progbits
; Kernel info:
; codeLenInByte = 1728
; TotalNumSgprs: 27
; NumVgprs: 12
; ScratchSize: 0
; MemoryBound: 0
; FloatMode: 240
; IeeeMode: 1
; LDSByteSize: 16384 bytes/workgroup (compile time only)
; SGPRBlocks: 3
; VGPRBlocks: 2
; NumSGPRsForWavesPerEU: 27
; NumVGPRsForWavesPerEU: 12
; Occupancy: 8
; WaveLimiterHint : 0
; COMPUTE_PGM_RSRC2:SCRATCH_EN: 0
; COMPUTE_PGM_RSRC2:USER_SGPR: 8
; COMPUTE_PGM_RSRC2:TRAP_HANDLER: 0
; COMPUTE_PGM_RSRC2:TGID_X_EN: 1
; COMPUTE_PGM_RSRC2:TGID_Y_EN: 0
; COMPUTE_PGM_RSRC2:TGID_Z_EN: 0
; COMPUTE_PGM_RSRC2:TIDIG_COMP_CNT: 2
	.section	.text._ZN2at6native12_GLOBAL__N_123philox_multi_key_kernelIfZZZZNS0_21_philox_uniform_cuda_ERNS_6TensorERKS3_ddENKUlvE_clEvENKUlvE0_clEvENKUlvE_clEvEUlmmE0_ZZZNS0_21_philox_uniform_cuda_ES4_S6_ddENKS7_clEvENKS8_clEvEUlT_E_EEvPSB_PKmllT0_T1_16OffsetCalculatorILi1EjLb0EE,"axG",@progbits,_ZN2at6native12_GLOBAL__N_123philox_multi_key_kernelIfZZZZNS0_21_philox_uniform_cuda_ERNS_6TensorERKS3_ddENKUlvE_clEvENKUlvE0_clEvENKUlvE_clEvEUlmmE0_ZZZNS0_21_philox_uniform_cuda_ES4_S6_ddENKS7_clEvENKS8_clEvEUlT_E_EEvPSB_PKmllT0_T1_16OffsetCalculatorILi1EjLb0EE,comdat
	.globl	_ZN2at6native12_GLOBAL__N_123philox_multi_key_kernelIfZZZZNS0_21_philox_uniform_cuda_ERNS_6TensorERKS3_ddENKUlvE_clEvENKUlvE0_clEvENKUlvE_clEvEUlmmE0_ZZZNS0_21_philox_uniform_cuda_ES4_S6_ddENKS7_clEvENKS8_clEvEUlT_E_EEvPSB_PKmllT0_T1_16OffsetCalculatorILi1EjLb0EE ; -- Begin function _ZN2at6native12_GLOBAL__N_123philox_multi_key_kernelIfZZZZNS0_21_philox_uniform_cuda_ERNS_6TensorERKS3_ddENKUlvE_clEvENKUlvE0_clEvENKUlvE_clEvEUlmmE0_ZZZNS0_21_philox_uniform_cuda_ES4_S6_ddENKS7_clEvENKS8_clEvEUlT_E_EEvPSB_PKmllT0_T1_16OffsetCalculatorILi1EjLb0EE
	.p2align	8
	.type	_ZN2at6native12_GLOBAL__N_123philox_multi_key_kernelIfZZZZNS0_21_philox_uniform_cuda_ERNS_6TensorERKS3_ddENKUlvE_clEvENKUlvE0_clEvENKUlvE_clEvEUlmmE0_ZZZNS0_21_philox_uniform_cuda_ES4_S6_ddENKS7_clEvENKS8_clEvEUlT_E_EEvPSB_PKmllT0_T1_16OffsetCalculatorILi1EjLb0EE,@function
_ZN2at6native12_GLOBAL__N_123philox_multi_key_kernelIfZZZZNS0_21_philox_uniform_cuda_ERNS_6TensorERKS3_ddENKUlvE_clEvENKUlvE0_clEvENKUlvE_clEvEUlmmE0_ZZZNS0_21_philox_uniform_cuda_ES4_S6_ddENKS7_clEvENKS8_clEvEUlT_E_EEvPSB_PKmllT0_T1_16OffsetCalculatorILi1EjLb0EE: ; @_ZN2at6native12_GLOBAL__N_123philox_multi_key_kernelIfZZZZNS0_21_philox_uniform_cuda_ERNS_6TensorERKS3_ddENKUlvE_clEvENKUlvE0_clEvENKUlvE_clEvEUlmmE0_ZZZNS0_21_philox_uniform_cuda_ES4_S6_ddENKS7_clEvENKS8_clEvEUlT_E_EEvPSB_PKmllT0_T1_16OffsetCalculatorILi1EjLb0EE
; %bb.0:
	s_load_dwordx4 s[0:3], s[4:5], 0x10
	s_load_dword s7, s[4:5], 0x13c
	v_mov_b32_e32 v4, 0
	v_mov_b32_e32 v1, v4
	;; [unrolled: 1-line block ×3, first 2 shown]
	s_waitcnt lgkmcnt(0)
	s_add_u32 s8, s2, 3
	s_addc_u32 s9, s3, 0
	s_ashr_i32 s10, s9, 31
	s_lshr_b32 s10, s10, 30
	s_add_u32 s8, s8, s10
	s_addc_u32 s9, s9, 0
	s_and_b32 s7, s7, 0xffff
	s_ashr_i64 s[24:25], s[8:9], 2
	v_mad_u64_u32 v[2:3], s[6:7], s7, v2, v[0:1]
	s_mul_i32 s1, s24, s1
	s_mul_hi_u32 s8, s24, s0
	s_add_i32 s1, s8, s1
	s_mul_i32 s6, s25, s0
	s_add_i32 s1, s1, s6
	s_mul_i32 s0, s24, s0
	v_cmp_gt_i64_e32 vcc, s[0:1], v[2:3]
	s_and_saveexec_b64 s[0:1], vcc
	s_cbranch_execz .LBB3_23
; %bb.1:
	v_or_b32_e32 v5, s25, v3
	v_cmp_ne_u64_e32 vcc, 0, v[4:5]
                                        ; implicit-def: $vgpr0_vgpr1
	s_and_saveexec_b64 s[0:1], vcc
	s_xor_b64 s[6:7], exec, s[0:1]
	s_cbranch_execz .LBB3_3
; %bb.2:
	s_ashr_i32 s8, s25, 31
	s_add_u32 s0, s24, s8
	s_mov_b32 s9, s8
	s_addc_u32 s1, s25, s8
	s_xor_b64 s[10:11], s[0:1], s[8:9]
	v_cvt_f32_u32_e32 v0, s10
	v_cvt_f32_u32_e32 v1, s11
	s_sub_u32 s9, 0, s10
	s_subb_u32 s12, 0, s11
	v_ashrrev_i32_e32 v6, 31, v3
	v_madmk_f32 v0, v1, 0x4f800000, v0
	v_rcp_f32_e32 v0, v0
	v_mul_f32_e32 v0, 0x5f7ffffc, v0
	v_mul_f32_e32 v1, 0x2f800000, v0
	v_trunc_f32_e32 v1, v1
	v_madmk_f32 v0, v1, 0xcf800000, v0
	v_cvt_u32_f32_e32 v1, v1
	v_cvt_u32_f32_e32 v0, v0
	v_readfirstlane_b32 s13, v1
	v_readfirstlane_b32 s0, v0
	s_mul_i32 s1, s9, s13
	s_mul_hi_u32 s15, s9, s0
	s_mul_i32 s14, s12, s0
	s_add_i32 s1, s15, s1
	s_add_i32 s1, s1, s14
	s_mul_i32 s16, s9, s0
	s_mul_i32 s15, s0, s1
	s_mul_hi_u32 s17, s0, s16
	s_mul_hi_u32 s14, s0, s1
	s_add_u32 s15, s17, s15
	s_addc_u32 s14, 0, s14
	s_mul_hi_u32 s18, s13, s16
	s_mul_i32 s16, s13, s16
	s_add_u32 s15, s15, s16
	s_mul_hi_u32 s17, s13, s1
	s_addc_u32 s14, s14, s18
	s_addc_u32 s15, s17, 0
	s_mul_i32 s1, s13, s1
	s_add_u32 s1, s14, s1
	s_addc_u32 s14, 0, s15
	s_add_u32 s15, s0, s1
	s_cselect_b64 s[0:1], -1, 0
	s_cmp_lg_u64 s[0:1], 0
	s_addc_u32 s13, s13, s14
	s_mul_i32 s0, s9, s13
	s_mul_hi_u32 s1, s9, s15
	s_add_i32 s0, s1, s0
	s_mul_i32 s12, s12, s15
	s_add_i32 s0, s0, s12
	s_mul_i32 s9, s9, s15
	s_mul_hi_u32 s12, s13, s9
	s_mul_i32 s14, s13, s9
	s_mul_i32 s17, s15, s0
	s_mul_hi_u32 s9, s15, s9
	s_mul_hi_u32 s16, s15, s0
	s_add_u32 s9, s9, s17
	s_addc_u32 s16, 0, s16
	s_add_u32 s9, s9, s14
	s_mul_hi_u32 s1, s13, s0
	s_addc_u32 s9, s16, s12
	s_addc_u32 s1, s1, 0
	s_mul_i32 s0, s13, s0
	s_add_u32 s0, s9, s0
	s_addc_u32 s9, 0, s1
	s_add_u32 s12, s15, s0
	s_cselect_b64 s[0:1], -1, 0
	s_cmp_lg_u64 s[0:1], 0
	v_add_co_u32_e32 v0, vcc, v2, v6
	s_addc_u32 s9, s13, s9
	v_xor_b32_e32 v7, v0, v6
	v_mad_u64_u32 v[0:1], s[0:1], v7, s9, 0
	v_mul_hi_u32 v5, v7, s12
	v_addc_co_u32_e32 v4, vcc, v3, v6, vcc
	v_xor_b32_e32 v8, v4, v6
	v_add_co_u32_e32 v9, vcc, v5, v0
	v_addc_co_u32_e32 v10, vcc, 0, v1, vcc
	v_mad_u64_u32 v[0:1], s[0:1], v8, s12, 0
	v_mad_u64_u32 v[4:5], s[0:1], v8, s9, 0
	v_add_co_u32_e32 v0, vcc, v9, v0
	v_addc_co_u32_e32 v0, vcc, v10, v1, vcc
	v_addc_co_u32_e32 v1, vcc, 0, v5, vcc
	v_add_co_u32_e32 v4, vcc, v0, v4
	v_addc_co_u32_e32 v5, vcc, 0, v1, vcc
	v_mul_lo_u32 v9, s11, v4
	v_mul_lo_u32 v10, s10, v5
	v_mad_u64_u32 v[0:1], s[0:1], s10, v4, 0
	v_add3_u32 v1, v1, v10, v9
	v_sub_u32_e32 v9, v8, v1
	v_mov_b32_e32 v10, s11
	v_sub_co_u32_e32 v0, vcc, v7, v0
	v_subb_co_u32_e64 v7, s[0:1], v9, v10, vcc
	v_subrev_co_u32_e64 v9, s[0:1], s10, v0
	v_subbrev_co_u32_e64 v7, s[0:1], 0, v7, s[0:1]
	v_cmp_le_u32_e64 s[0:1], s11, v7
	v_cndmask_b32_e64 v10, 0, -1, s[0:1]
	v_cmp_le_u32_e64 s[0:1], s10, v9
	v_cndmask_b32_e64 v9, 0, -1, s[0:1]
	v_cmp_eq_u32_e64 s[0:1], s11, v7
	v_cndmask_b32_e64 v7, v10, v9, s[0:1]
	v_add_co_u32_e64 v9, s[0:1], 2, v4
	v_subb_co_u32_e32 v1, vcc, v8, v1, vcc
	v_addc_co_u32_e64 v10, s[0:1], 0, v5, s[0:1]
	v_cmp_le_u32_e32 vcc, s11, v1
	v_add_co_u32_e64 v11, s[0:1], 1, v4
	v_cndmask_b32_e64 v8, 0, -1, vcc
	v_cmp_le_u32_e32 vcc, s10, v0
	v_addc_co_u32_e64 v12, s[0:1], 0, v5, s[0:1]
	v_cndmask_b32_e64 v0, 0, -1, vcc
	v_cmp_eq_u32_e32 vcc, s11, v1
	v_cmp_ne_u32_e64 s[0:1], 0, v7
	v_cndmask_b32_e32 v0, v8, v0, vcc
	v_cndmask_b32_e64 v7, v12, v10, s[0:1]
	v_cmp_ne_u32_e32 vcc, 0, v0
	v_cndmask_b32_e64 v1, v11, v9, s[0:1]
	v_cndmask_b32_e32 v0, v5, v7, vcc
	v_cndmask_b32_e32 v1, v4, v1, vcc
	v_xor_b32_e32 v4, s8, v6
	v_xor_b32_e32 v5, v0, v4
	;; [unrolled: 1-line block ×3, first 2 shown]
	v_sub_co_u32_e32 v0, vcc, v0, v4
	v_subb_co_u32_e32 v1, vcc, v5, v4, vcc
.LBB3_3:
	s_andn2_saveexec_b64 s[0:1], s[6:7]
	s_cbranch_execz .LBB3_5
; %bb.4:
	v_cvt_f32_u32_e32 v0, s24
	s_sub_i32 s6, 0, s24
	v_rcp_iflag_f32_e32 v0, v0
	v_mul_f32_e32 v0, 0x4f7ffffe, v0
	v_cvt_u32_f32_e32 v0, v0
	v_mul_lo_u32 v1, s6, v0
	v_mul_hi_u32 v1, v0, v1
	v_add_u32_e32 v0, v0, v1
	v_mul_hi_u32 v0, v2, v0
	v_mul_lo_u32 v1, v0, s24
	v_add_u32_e32 v4, 1, v0
	v_sub_u32_e32 v1, v2, v1
	v_subrev_u32_e32 v5, s24, v1
	v_cmp_le_u32_e32 vcc, s24, v1
	v_cndmask_b32_e32 v1, v1, v5, vcc
	v_cndmask_b32_e32 v0, v0, v4, vcc
	v_add_u32_e32 v4, 1, v0
	v_cmp_le_u32_e32 vcc, s24, v1
	v_cndmask_b32_e32 v0, v0, v4, vcc
	v_mov_b32_e32 v1, 0
.LBB3_5:
	s_or_b64 exec, exec, s[0:1]
	s_load_dword s33, s[4:5], 0x2c
	s_load_dwordx2 s[6:7], s[4:5], 0x8
	s_load_dwordx2 s[0:1], s[4:5], 0x24
	s_add_u32 s26, s4, 44
	s_addc_u32 s27, s5, 0
	s_waitcnt lgkmcnt(0)
	s_add_i32 s8, s33, -1
	s_cmp_lt_u32 s8, 2
	s_cbranch_scc1 .LBB3_11
; %bb.6:
	s_cmp_lg_u32 s33, 0
	s_mov_b32 s34, 0
	s_cbranch_scc0 .LBB3_12
; %bb.7:
	s_min_u32 s35, s8, 15
	s_add_i32 s35, s35, 1
	s_cmp_eq_u32 s8, 2
	s_cbranch_scc1 .LBB3_13
; %bb.8:
	s_and_b32 s34, s35, 28
	s_add_u32 s28, s26, 0xc4
	s_addc_u32 s29, s27, 0
	s_mov_b32 s36, 0
	v_mov_b32_e32 v4, 0
	s_mov_b64 s[30:31], s[26:27]
	v_mov_b32_e32 v5, v0
.LBB3_9:                                ; =>This Inner Loop Header: Depth=1
	s_load_dwordx8 s[8:15], s[30:31], 0x4
	s_load_dwordx4 s[16:19], s[30:31], 0x24
	s_load_dwordx4 s[20:23], s[28:29], 0x0
	s_add_u32 s30, s30, 48
	s_addc_u32 s31, s31, 0
	s_waitcnt lgkmcnt(0)
	v_mul_hi_u32 v6, s9, v5
	s_add_i32 s36, s36, 4
	s_add_u32 s28, s28, 16
	s_addc_u32 s29, s29, 0
	v_add_u32_e32 v6, v5, v6
	v_lshrrev_b32_e32 v6, s10, v6
	v_mul_lo_u32 v7, v6, s8
	v_mul_hi_u32 v8, s12, v6
	s_cmp_lg_u32 s34, s36
	v_sub_u32_e32 v5, v5, v7
	v_add_u32_e32 v7, v6, v8
	v_lshrrev_b32_e32 v7, s13, v7
	v_mul_lo_u32 v8, v5, s20
	v_mul_hi_u32 v5, s15, v7
	v_mul_lo_u32 v10, v7, s11
	v_add_u32_e32 v5, v7, v5
	v_lshrrev_b32_e32 v9, s16, v5
	v_mul_hi_u32 v5, s18, v9
	v_sub_u32_e32 v6, v6, v10
	v_mul_lo_u32 v10, v9, s14
	v_mul_lo_u32 v6, v6, s21
	v_add_u32_e32 v5, v9, v5
	v_lshrrev_b32_e32 v5, s19, v5
	v_mul_lo_u32 v11, v5, s17
	v_sub_u32_e32 v7, v7, v10
	v_mul_lo_u32 v7, v7, s22
	v_add3_u32 v4, v8, v4, v6
	v_sub_u32_e32 v9, v9, v11
	v_mul_lo_u32 v9, v9, s23
	v_add3_u32 v4, v7, v4, v9
	s_cbranch_scc1 .LBB3_9
; %bb.10:
	s_and_b32 s12, s35, 3
	s_cmp_eq_u32 s12, 0
	s_cbranch_scc0 .LBB3_14
	s_branch .LBB3_16
.LBB3_11:
                                        ; implicit-def: $vgpr4
	s_load_dwordx2 s[4:5], s[4:5], 0x0
	s_branch .LBB3_17
.LBB3_12:
	v_mov_b32_e32 v4, 0
	s_branch .LBB3_16
.LBB3_13:
	v_mov_b32_e32 v4, 0
	v_mov_b32_e32 v5, v0
	s_and_b32 s12, s35, 3
	s_cmp_eq_u32 s12, 0
	s_cbranch_scc1 .LBB3_16
.LBB3_14:
	s_lshl_b32 s8, s34, 2
	s_add_u32 s8, s26, s8
	s_addc_u32 s9, s27, 0
	s_add_u32 s8, s8, 0xc4
	s_addc_u32 s9, s9, 0
	s_mul_i32 s10, s34, 12
	s_add_u32 s10, s26, s10
	s_addc_u32 s11, s27, 0
.LBB3_15:                               ; =>This Inner Loop Header: Depth=1
	s_load_dwordx2 s[14:15], s[10:11], 0x4
	s_load_dword s13, s[10:11], 0xc
	s_add_u32 s10, s10, 12
	s_addc_u32 s11, s11, 0
	s_waitcnt lgkmcnt(0)
	v_mul_hi_u32 v6, s15, v5
	s_load_dword s15, s[8:9], 0x0
	s_add_u32 s8, s8, 4
	s_addc_u32 s9, s9, 0
	v_add_u32_e32 v6, v5, v6
	v_lshrrev_b32_e32 v6, s13, v6
	v_mul_lo_u32 v7, v6, s14
	s_add_i32 s12, s12, -1
	s_cmp_lg_u32 s12, 0
	v_sub_u32_e32 v5, v5, v7
	s_waitcnt lgkmcnt(0)
	v_mad_u64_u32 v[4:5], s[14:15], v5, s15, v[4:5]
	v_mov_b32_e32 v5, v6
	s_cbranch_scc1 .LBB3_15
.LBB3_16:
	s_load_dwordx2 s[4:5], s[4:5], 0x0
	s_cbranch_execnz .LBB3_19
.LBB3_17:
	s_load_dwordx4 s[8:11], s[26:27], 0x4
	s_waitcnt lgkmcnt(0)
	s_load_dword s11, s[26:27], 0xc4
	s_cmp_lt_u32 s33, 2
	v_mul_hi_u32 v4, v0, s9
	v_add_u32_e32 v4, v4, v0
	v_lshrrev_b32_e32 v5, s10, v4
	v_mul_lo_u32 v4, v5, s8
	v_sub_u32_e32 v4, v0, v4
	s_waitcnt lgkmcnt(0)
	v_mul_lo_u32 v4, v4, s11
	s_cbranch_scc1 .LBB3_19
; %bb.18:
	s_load_dwordx4 s[8:11], s[26:27], 0x10
	s_waitcnt lgkmcnt(0)
	s_load_dword s11, s[26:27], 0xc8
                                        ; kill: killed $sgpr26 killed $sgpr27
	v_mul_hi_u32 v6, s9, v5
	v_add_u32_e32 v6, v5, v6
	v_lshrrev_b32_e32 v6, s10, v6
	v_mul_lo_u32 v6, v6, s8
	v_sub_u32_e32 v5, v5, v6
	s_waitcnt lgkmcnt(0)
	v_mad_u64_u32 v[4:5], s[8:9], v5, s11, v[4:5]
.LBB3_19:
	v_mov_b32_e32 v5, 0
	v_lshlrev_b64 v[6:7], 3, v[4:5]
	v_add_u32_e32 v4, 1, v4
	v_mov_b32_e32 v8, s7
	v_add_co_u32_e32 v6, vcc, s6, v6
	v_lshlrev_b64 v[4:5], 3, v[4:5]
	v_addc_co_u32_e32 v7, vcc, v8, v7, vcc
	v_add_co_u32_e32 v4, vcc, s6, v4
	v_addc_co_u32_e32 v5, vcc, v8, v5, vcc
	global_load_dwordx2 v[6:7], v[6:7], off
	v_mul_lo_u32 v8, v1, s24
	global_load_dwordx2 v[15:16], v[4:5], off
	v_mul_lo_u32 v9, v0, s25
	v_mad_u64_u32 v[4:5], s[6:7], v0, s24, 0
	s_mov_b32 s8, 0xd2511f53
	s_mov_b32 s14, 0xcd9e8d57
	v_add3_u32 v5, v5, v9, v8
	v_sub_co_u32_e32 v2, vcc, v2, v4
	v_subb_co_u32_e32 v3, vcc, v3, v5, vcc
	s_and_b32 s10, s2, 3
	s_mov_b32 s11, 0
	s_cmp_lg_u64 s[10:11], 0
	s_cselect_b64 s[10:11], -1, 0
	s_ashr_i32 s9, s3, 31
	s_lshr_b32 s9, s9, 30
	s_add_u32 s12, s2, s9
	s_addc_u32 s13, s3, 0
	s_mov_b64 s[6:7], 0
	s_waitcnt vmcnt(1)
	v_add_u32_e32 v20, 0xbb67ae85, v7
	v_add_u32_e32 v21, 0x76cf5d0a, v7
	s_waitcnt vmcnt(0)
	v_add_co_u32_e32 v22, vcc, v15, v2
	v_mul_hi_u32 v23, v22, s8
	v_mul_lo_u32 v22, v22, s8
	v_addc_co_u32_e32 v16, vcc, v16, v3, vcc
	v_xor_b32_e32 v24, v16, v6
	v_xor_b32_e32 v20, v22, v20
	v_mul_hi_u32 v22, v24, s8
	v_xor_b32_e32 v23, v23, v7
	v_add_u32_e32 v4, 0x9e3779b9, v6
	v_add_u32_e32 v18, 0x3c6ef372, v6
	v_xor_b32_e32 v20, v20, v22
	v_mul_lo_u32 v22, v24, s8
	v_add_u32_e32 v19, 0xdaa66d2b, v6
	v_add_u32_e32 v5, 0x32370b8f, v7
	;; [unrolled: 1-line block ×3, first 2 shown]
	v_xor_b32_e32 v21, v22, v21
	v_mul_hi_u32 v22, v23, s14
	v_mul_lo_u32 v23, v23, s14
	v_add_u32_e32 v11, 0x78dde6e4, v6
	v_add_u32_e32 v9, 0xa9066899, v7
	v_xor_b32_e32 v4, v4, v22
	v_mul_hi_u32 v22, v20, s14
	v_xor_b32_e32 v18, v23, v18
	v_add_u32_e32 v14, 0x646e171e, v7
	v_add_u32_e32 v12, 0x1715609d, v6
	v_xor_b32_e32 v18, v18, v22
	v_mul_lo_u32 v22, v1, s2
	v_mul_lo_u32 v1, v20, s14
	v_mul_hi_u32 v20, v18, s8
	v_mul_lo_u32 v18, v18, s8
	v_add_u32_e32 v10, 0xb54cda56, v6
	v_xor_b32_e32 v1, v1, v19
	v_mul_hi_u32 v19, v4, s8
	v_mul_lo_u32 v4, v4, s8
	v_xor_b32_e32 v17, v18, v17
	v_add_u32_e32 v13, 0x1fd5c5a3, v7
	v_xor_b32_e32 v19, v21, v19
	v_xor_b32_e32 v4, v4, v5
	;; [unrolled: 1-line block ×3, first 2 shown]
	v_mul_hi_u32 v5, v19, s14
	v_mul_lo_u32 v18, v19, s14
	v_mul_hi_u32 v19, v4, s14
	v_mul_lo_u32 v20, v4, s14
	v_xor_b32_e32 v1, v1, v5
	v_xor_b32_e32 v11, v18, v11
	v_xor_b32_e32 v11, v11, v19
	v_mul_hi_u32 v18, v1, s8
	v_mul_lo_u32 v1, v1, s8
	v_mul_hi_u32 v19, v11, s8
	v_mul_lo_u32 v11, v11, s8
	v_xor_b32_e32 v17, v17, v18
	v_xor_b32_e32 v1, v1, v9
	;; [unrolled: 1-line block ×4, first 2 shown]
	v_mul_hi_u32 v11, v17, s14
	v_mul_lo_u32 v14, v17, s14
	v_mul_hi_u32 v17, v1, s14
	v_xor_b32_e32 v12, v20, v12
	v_xor_b32_e32 v11, v12, v11
	;; [unrolled: 1-line block ×4, first 2 shown]
	v_mul_hi_u32 v12, v11, s8
	v_mul_lo_u32 v11, v11, s8
	v_mul_hi_u32 v14, v10, s8
	v_mul_lo_u32 v1, v1, s14
	v_xor_b32_e32 v9, v9, v12
	v_xor_b32_e32 v11, v11, v13
	v_xor_b32_e32 v11, v11, v14
	v_mul_hi_u32 v12, v9, s14
	v_mul_lo_u32 v9, v9, s14
	v_mul_hi_u32 v13, v11, s14
	v_add_u32_e32 v15, 0x5384540f, v6
	v_add_u32_e32 v8, 0x8ff34781, v6
	;; [unrolled: 1-line block ×3, first 2 shown]
	v_xor_b32_e32 v1, v1, v15
	v_mul_lo_u32 v10, v10, s8
	v_xor_b32_e32 v1, v1, v12
	v_xor_b32_e32 v6, v9, v6
	;; [unrolled: 1-line block ×3, first 2 shown]
	v_mul_hi_u32 v9, v1, s8
	v_mul_lo_u32 v1, v1, s8
	v_mul_lo_u32 v11, v11, s14
	v_mul_hi_u32 v12, v6, s8
	v_add_u32_e32 v16, 0xdb3d7428, v7
	v_add_u32_e32 v7, 0x96a522ad, v7
	v_lshlrev_b64 v[4:5], 2, v[2:3]
	v_xor_b32_e32 v10, v10, v16
	v_xor_b32_e32 v9, v10, v9
	;; [unrolled: 1-line block ×3, first 2 shown]
	v_mul_lo_u32 v23, v0, s3
	v_xor_b32_e32 v11, v11, v8
	v_xor_b32_e32 v8, v1, v12
	v_mul_hi_u32 v7, v9, s14
	v_mad_u64_u32 v[0:1], s[8:9], v0, s2, v[4:5]
	v_mul_lo_u32 v9, v9, s14
	s_ashr_i64 s[8:9], s[12:13], 2
	v_cmp_le_i64_e32 vcc, s[8:9], v[2:3]
	v_mov_b32_e32 v2, s0
	v_xor_b32_e32 v10, v11, v7
	v_add3_u32 v1, v22, v1, v23
	s_or_b64 s[8:9], s[10:11], vcc
	v_sub_f32_e32 v7, s1, v2
	s_and_saveexec_b64 s[10:11], s[8:9]
	s_xor_b64 s[8:9], exec, s[10:11]
	s_cbranch_execnz .LBB3_24
; %bb.20:
	s_andn2_saveexec_b64 s[2:3], s[8:9]
	s_cbranch_execnz .LBB3_31
.LBB3_21:
	s_or_b64 exec, exec, s[2:3]
	s_and_b64 exec, exec, s[6:7]
	s_cbranch_execz .LBB3_23
.LBB3_22:
	s_mov_b32 s1, 0x511f53
	v_mul_lo_u32 v2, v6, s1
	v_lshlrev_b64 v[0:1], 2, v[0:1]
	s_waitcnt lgkmcnt(0)
	v_mov_b32_e32 v3, s5
	v_add_co_u32_e32 v0, vcc, s4, v0
	v_and_b32_e32 v2, 0xffffff, v2
	v_cvt_f32_u32_e32 v2, v2
	v_addc_co_u32_e32 v1, vcc, v3, v1, vcc
	v_mul_f32_e32 v2, 0x33800000, v2
	v_fma_f32 v2, v7, v2, s0
	global_store_dword v[0:1], v2, off offset:12
.LBB3_23:
	s_endpgm
.LBB3_24:
	v_cmp_gt_i64_e32 vcc, s[2:3], v[4:5]
	s_mov_b64 s[10:11], 0
	s_and_saveexec_b64 s[6:7], vcc
	s_cbranch_execz .LBB3_30
; %bb.25:
	v_and_b32_e32 v10, 0xffffff, v10
	v_cvt_f32_u32_e32 v10, v10
	v_lshlrev_b64 v[2:3], 2, v[0:1]
	s_waitcnt lgkmcnt(0)
	v_mov_b32_e32 v11, s5
	v_add_co_u32_e32 v2, vcc, s4, v2
	v_mul_f32_e32 v10, 0x33800000, v10
	v_addc_co_u32_e32 v3, vcc, v11, v3, vcc
	v_fma_f32 v10, v7, v10, s0
	global_store_dword v[2:3], v10, off
	v_or_b32_e32 v10, 1, v4
	v_mov_b32_e32 v11, v5
	v_cmp_gt_u64_e32 vcc, s[2:3], v[10:11]
	s_mov_b64 s[12:13], 0
	s_and_saveexec_b64 s[10:11], vcc
	s_cbranch_execz .LBB3_29
; %bb.26:
	v_and_b32_e32 v9, 0xffffff, v9
	v_cvt_f32_u32_e32 v11, v9
	v_or_b32_e32 v9, 2, v4
	v_mov_b32_e32 v10, v5
	v_cmp_gt_u64_e32 vcc, s[2:3], v[9:10]
	v_mul_f32_e32 v9, 0x33800000, v11
	v_fma_f32 v9, v7, v9, s0
	s_mov_b64 s[14:15], 0
	global_store_dword v[2:3], v9, off offset:4
	s_and_saveexec_b64 s[12:13], vcc
	s_xor_b64 s[12:13], exec, s[12:13]
	s_cbranch_execz .LBB3_28
; %bb.27:
	v_and_b32_e32 v8, 0xffffff, v8
	v_cvt_f32_u32_e32 v8, v8
	v_or_b32_e32 v4, 3, v4
	v_cmp_gt_u64_e32 vcc, s[2:3], v[4:5]
	s_and_b64 s[14:15], vcc, exec
	v_mul_f32_e32 v4, 0x33800000, v8
	v_fma_f32 v4, v7, v4, s0
	global_store_dword v[2:3], v4, off offset:8
.LBB3_28:
	s_or_b64 exec, exec, s[12:13]
	s_and_b64 s[12:13], s[14:15], exec
.LBB3_29:
	s_or_b64 exec, exec, s[10:11]
	s_and_b64 s[10:11], s[12:13], exec
.LBB3_30:
	s_or_b64 exec, exec, s[6:7]
	s_and_b64 s[6:7], s[10:11], exec
                                        ; implicit-def: $vgpr10
                                        ; implicit-def: $vgpr9
                                        ; implicit-def: $vgpr8
	s_andn2_saveexec_b64 s[2:3], s[8:9]
	s_cbranch_execz .LBB3_21
.LBB3_31:
	v_and_b32_e32 v2, 0xffffff, v10
	v_and_b32_e32 v3, 0xffffff, v9
	;; [unrolled: 1-line block ×3, first 2 shown]
	v_cvt_f32_u32_e32 v2, v2
	v_cvt_f32_u32_e32 v3, v3
	v_cvt_f32_u32_e32 v4, v4
	v_lshlrev_b64 v[8:9], 2, v[0:1]
	v_mul_f32_e32 v2, 0x33800000, v2
	v_mul_f32_e32 v3, 0x33800000, v3
	;; [unrolled: 1-line block ×3, first 2 shown]
	s_waitcnt lgkmcnt(0)
	v_mov_b32_e32 v5, s5
	v_add_co_u32_e32 v8, vcc, s4, v8
	v_fma_f32 v2, v7, v2, s0
	v_fma_f32 v3, v7, v3, s0
	;; [unrolled: 1-line block ×3, first 2 shown]
	v_addc_co_u32_e32 v9, vcc, v5, v9, vcc
	s_or_b64 s[6:7], s[6:7], exec
	global_store_dwordx3 v[8:9], v[2:4], off
	s_or_b64 exec, exec, s[2:3]
	s_and_b64 exec, exec, s[6:7]
	s_cbranch_execnz .LBB3_22
	s_branch .LBB3_23
	.section	.rodata,"a",@progbits
	.p2align	6, 0x0
	.amdhsa_kernel _ZN2at6native12_GLOBAL__N_123philox_multi_key_kernelIfZZZZNS0_21_philox_uniform_cuda_ERNS_6TensorERKS3_ddENKUlvE_clEvENKUlvE0_clEvENKUlvE_clEvEUlmmE0_ZZZNS0_21_philox_uniform_cuda_ES4_S6_ddENKS7_clEvENKS8_clEvEUlT_E_EEvPSB_PKmllT0_T1_16OffsetCalculatorILi1EjLb0EE
		.amdhsa_group_segment_fixed_size 0
		.amdhsa_private_segment_fixed_size 0
		.amdhsa_kernarg_size 560
		.amdhsa_user_sgpr_count 6
		.amdhsa_user_sgpr_private_segment_buffer 1
		.amdhsa_user_sgpr_dispatch_ptr 0
		.amdhsa_user_sgpr_queue_ptr 0
		.amdhsa_user_sgpr_kernarg_segment_ptr 1
		.amdhsa_user_sgpr_dispatch_id 0
		.amdhsa_user_sgpr_flat_scratch_init 0
		.amdhsa_user_sgpr_private_segment_size 0
		.amdhsa_uses_dynamic_stack 0
		.amdhsa_system_sgpr_private_segment_wavefront_offset 0
		.amdhsa_system_sgpr_workgroup_id_x 1
		.amdhsa_system_sgpr_workgroup_id_y 0
		.amdhsa_system_sgpr_workgroup_id_z 0
		.amdhsa_system_sgpr_workgroup_info 0
		.amdhsa_system_vgpr_workitem_id 0
		.amdhsa_next_free_vgpr 25
		.amdhsa_next_free_sgpr 37
		.amdhsa_reserve_vcc 1
		.amdhsa_reserve_flat_scratch 0
		.amdhsa_float_round_mode_32 0
		.amdhsa_float_round_mode_16_64 0
		.amdhsa_float_denorm_mode_32 3
		.amdhsa_float_denorm_mode_16_64 3
		.amdhsa_dx10_clamp 1
		.amdhsa_ieee_mode 1
		.amdhsa_fp16_overflow 0
		.amdhsa_exception_fp_ieee_invalid_op 0
		.amdhsa_exception_fp_denorm_src 0
		.amdhsa_exception_fp_ieee_div_zero 0
		.amdhsa_exception_fp_ieee_overflow 0
		.amdhsa_exception_fp_ieee_underflow 0
		.amdhsa_exception_fp_ieee_inexact 0
		.amdhsa_exception_int_div_zero 0
	.end_amdhsa_kernel
	.section	.text._ZN2at6native12_GLOBAL__N_123philox_multi_key_kernelIfZZZZNS0_21_philox_uniform_cuda_ERNS_6TensorERKS3_ddENKUlvE_clEvENKUlvE0_clEvENKUlvE_clEvEUlmmE0_ZZZNS0_21_philox_uniform_cuda_ES4_S6_ddENKS7_clEvENKS8_clEvEUlT_E_EEvPSB_PKmllT0_T1_16OffsetCalculatorILi1EjLb0EE,"axG",@progbits,_ZN2at6native12_GLOBAL__N_123philox_multi_key_kernelIfZZZZNS0_21_philox_uniform_cuda_ERNS_6TensorERKS3_ddENKUlvE_clEvENKUlvE0_clEvENKUlvE_clEvEUlmmE0_ZZZNS0_21_philox_uniform_cuda_ES4_S6_ddENKS7_clEvENKS8_clEvEUlT_E_EEvPSB_PKmllT0_T1_16OffsetCalculatorILi1EjLb0EE,comdat
.Lfunc_end3:
	.size	_ZN2at6native12_GLOBAL__N_123philox_multi_key_kernelIfZZZZNS0_21_philox_uniform_cuda_ERNS_6TensorERKS3_ddENKUlvE_clEvENKUlvE0_clEvENKUlvE_clEvEUlmmE0_ZZZNS0_21_philox_uniform_cuda_ES4_S6_ddENKS7_clEvENKS8_clEvEUlT_E_EEvPSB_PKmllT0_T1_16OffsetCalculatorILi1EjLb0EE, .Lfunc_end3-_ZN2at6native12_GLOBAL__N_123philox_multi_key_kernelIfZZZZNS0_21_philox_uniform_cuda_ERNS_6TensorERKS3_ddENKUlvE_clEvENKUlvE0_clEvENKUlvE_clEvEUlmmE0_ZZZNS0_21_philox_uniform_cuda_ES4_S6_ddENKS7_clEvENKS8_clEvEUlT_E_EEvPSB_PKmllT0_T1_16OffsetCalculatorILi1EjLb0EE
                                        ; -- End function
	.set _ZN2at6native12_GLOBAL__N_123philox_multi_key_kernelIfZZZZNS0_21_philox_uniform_cuda_ERNS_6TensorERKS3_ddENKUlvE_clEvENKUlvE0_clEvENKUlvE_clEvEUlmmE0_ZZZNS0_21_philox_uniform_cuda_ES4_S6_ddENKS7_clEvENKS8_clEvEUlT_E_EEvPSB_PKmllT0_T1_16OffsetCalculatorILi1EjLb0EE.num_vgpr, 25
	.set _ZN2at6native12_GLOBAL__N_123philox_multi_key_kernelIfZZZZNS0_21_philox_uniform_cuda_ERNS_6TensorERKS3_ddENKUlvE_clEvENKUlvE0_clEvENKUlvE_clEvEUlmmE0_ZZZNS0_21_philox_uniform_cuda_ES4_S6_ddENKS7_clEvENKS8_clEvEUlT_E_EEvPSB_PKmllT0_T1_16OffsetCalculatorILi1EjLb0EE.num_agpr, 0
	.set _ZN2at6native12_GLOBAL__N_123philox_multi_key_kernelIfZZZZNS0_21_philox_uniform_cuda_ERNS_6TensorERKS3_ddENKUlvE_clEvENKUlvE0_clEvENKUlvE_clEvEUlmmE0_ZZZNS0_21_philox_uniform_cuda_ES4_S6_ddENKS7_clEvENKS8_clEvEUlT_E_EEvPSB_PKmllT0_T1_16OffsetCalculatorILi1EjLb0EE.numbered_sgpr, 37
	.set _ZN2at6native12_GLOBAL__N_123philox_multi_key_kernelIfZZZZNS0_21_philox_uniform_cuda_ERNS_6TensorERKS3_ddENKUlvE_clEvENKUlvE0_clEvENKUlvE_clEvEUlmmE0_ZZZNS0_21_philox_uniform_cuda_ES4_S6_ddENKS7_clEvENKS8_clEvEUlT_E_EEvPSB_PKmllT0_T1_16OffsetCalculatorILi1EjLb0EE.num_named_barrier, 0
	.set _ZN2at6native12_GLOBAL__N_123philox_multi_key_kernelIfZZZZNS0_21_philox_uniform_cuda_ERNS_6TensorERKS3_ddENKUlvE_clEvENKUlvE0_clEvENKUlvE_clEvEUlmmE0_ZZZNS0_21_philox_uniform_cuda_ES4_S6_ddENKS7_clEvENKS8_clEvEUlT_E_EEvPSB_PKmllT0_T1_16OffsetCalculatorILi1EjLb0EE.private_seg_size, 0
	.set _ZN2at6native12_GLOBAL__N_123philox_multi_key_kernelIfZZZZNS0_21_philox_uniform_cuda_ERNS_6TensorERKS3_ddENKUlvE_clEvENKUlvE0_clEvENKUlvE_clEvEUlmmE0_ZZZNS0_21_philox_uniform_cuda_ES4_S6_ddENKS7_clEvENKS8_clEvEUlT_E_EEvPSB_PKmllT0_T1_16OffsetCalculatorILi1EjLb0EE.uses_vcc, 1
	.set _ZN2at6native12_GLOBAL__N_123philox_multi_key_kernelIfZZZZNS0_21_philox_uniform_cuda_ERNS_6TensorERKS3_ddENKUlvE_clEvENKUlvE0_clEvENKUlvE_clEvEUlmmE0_ZZZNS0_21_philox_uniform_cuda_ES4_S6_ddENKS7_clEvENKS8_clEvEUlT_E_EEvPSB_PKmllT0_T1_16OffsetCalculatorILi1EjLb0EE.uses_flat_scratch, 0
	.set _ZN2at6native12_GLOBAL__N_123philox_multi_key_kernelIfZZZZNS0_21_philox_uniform_cuda_ERNS_6TensorERKS3_ddENKUlvE_clEvENKUlvE0_clEvENKUlvE_clEvEUlmmE0_ZZZNS0_21_philox_uniform_cuda_ES4_S6_ddENKS7_clEvENKS8_clEvEUlT_E_EEvPSB_PKmllT0_T1_16OffsetCalculatorILi1EjLb0EE.has_dyn_sized_stack, 0
	.set _ZN2at6native12_GLOBAL__N_123philox_multi_key_kernelIfZZZZNS0_21_philox_uniform_cuda_ERNS_6TensorERKS3_ddENKUlvE_clEvENKUlvE0_clEvENKUlvE_clEvEUlmmE0_ZZZNS0_21_philox_uniform_cuda_ES4_S6_ddENKS7_clEvENKS8_clEvEUlT_E_EEvPSB_PKmllT0_T1_16OffsetCalculatorILi1EjLb0EE.has_recursion, 0
	.set _ZN2at6native12_GLOBAL__N_123philox_multi_key_kernelIfZZZZNS0_21_philox_uniform_cuda_ERNS_6TensorERKS3_ddENKUlvE_clEvENKUlvE0_clEvENKUlvE_clEvEUlmmE0_ZZZNS0_21_philox_uniform_cuda_ES4_S6_ddENKS7_clEvENKS8_clEvEUlT_E_EEvPSB_PKmllT0_T1_16OffsetCalculatorILi1EjLb0EE.has_indirect_call, 0
	.section	.AMDGPU.csdata,"",@progbits
; Kernel info:
; codeLenInByte = 2820
; TotalNumSgprs: 41
; NumVgprs: 25
; ScratchSize: 0
; MemoryBound: 0
; FloatMode: 240
; IeeeMode: 1
; LDSByteSize: 0 bytes/workgroup (compile time only)
; SGPRBlocks: 5
; VGPRBlocks: 6
; NumSGPRsForWavesPerEU: 41
; NumVGPRsForWavesPerEU: 25
; Occupancy: 9
; WaveLimiterHint : 1
; COMPUTE_PGM_RSRC2:SCRATCH_EN: 0
; COMPUTE_PGM_RSRC2:USER_SGPR: 6
; COMPUTE_PGM_RSRC2:TRAP_HANDLER: 0
; COMPUTE_PGM_RSRC2:TGID_X_EN: 1
; COMPUTE_PGM_RSRC2:TGID_Y_EN: 0
; COMPUTE_PGM_RSRC2:TGID_Z_EN: 0
; COMPUTE_PGM_RSRC2:TIDIG_COMP_CNT: 0
	.section	.text._ZN2at6native12_GLOBAL__N_124philox_single_key_kernelIN3c104HalfEZZZZNS0_21_philox_uniform_cuda_ERNS_6TensorERKS5_ddENKUlvE_clEvENKUlvE1_clEvENKUlvE_clEvEUlmmE0_ZZZNS0_21_philox_uniform_cuda_ES6_S8_ddENKS9_clEvENKSA_clEvEUlT_E_EEvPSD_PKmlT0_T1_,"axG",@progbits,_ZN2at6native12_GLOBAL__N_124philox_single_key_kernelIN3c104HalfEZZZZNS0_21_philox_uniform_cuda_ERNS_6TensorERKS5_ddENKUlvE_clEvENKUlvE1_clEvENKUlvE_clEvEUlmmE0_ZZZNS0_21_philox_uniform_cuda_ES6_S8_ddENKS9_clEvENKSA_clEvEUlT_E_EEvPSD_PKmlT0_T1_,comdat
	.globl	_ZN2at6native12_GLOBAL__N_124philox_single_key_kernelIN3c104HalfEZZZZNS0_21_philox_uniform_cuda_ERNS_6TensorERKS5_ddENKUlvE_clEvENKUlvE1_clEvENKUlvE_clEvEUlmmE0_ZZZNS0_21_philox_uniform_cuda_ES6_S8_ddENKS9_clEvENKSA_clEvEUlT_E_EEvPSD_PKmlT0_T1_ ; -- Begin function _ZN2at6native12_GLOBAL__N_124philox_single_key_kernelIN3c104HalfEZZZZNS0_21_philox_uniform_cuda_ERNS_6TensorERKS5_ddENKUlvE_clEvENKUlvE1_clEvENKUlvE_clEvEUlmmE0_ZZZNS0_21_philox_uniform_cuda_ES6_S8_ddENKS9_clEvENKSA_clEvEUlT_E_EEvPSD_PKmlT0_T1_
	.p2align	8
	.type	_ZN2at6native12_GLOBAL__N_124philox_single_key_kernelIN3c104HalfEZZZZNS0_21_philox_uniform_cuda_ERNS_6TensorERKS5_ddENKUlvE_clEvENKUlvE1_clEvENKUlvE_clEvEUlmmE0_ZZZNS0_21_philox_uniform_cuda_ES6_S8_ddENKS9_clEvENKSA_clEvEUlT_E_EEvPSD_PKmlT0_T1_,@function
_ZN2at6native12_GLOBAL__N_124philox_single_key_kernelIN3c104HalfEZZZZNS0_21_philox_uniform_cuda_ERNS_6TensorERKS5_ddENKUlvE_clEvENKUlvE1_clEvENKUlvE_clEvEUlmmE0_ZZZNS0_21_philox_uniform_cuda_ES6_S8_ddENKS9_clEvENKSA_clEvEUlT_E_EEvPSD_PKmlT0_T1_: ; @_ZN2at6native12_GLOBAL__N_124philox_single_key_kernelIN3c104HalfEZZZZNS0_21_philox_uniform_cuda_ERNS_6TensorERKS5_ddENKUlvE_clEvENKUlvE1_clEvENKUlvE_clEvEUlmmE0_ZZZNS0_21_philox_uniform_cuda_ES6_S8_ddENKS9_clEvENKSA_clEvEUlT_E_EEvPSD_PKmlT0_T1_
; %bb.0:
	v_mov_b32_e32 v3, v1
	v_mov_b32_e32 v1, 0
	global_load_dword v6, v1, s[6:7] offset:26
	s_load_dwordx2 s[12:13], s[6:7], 0x10
	s_load_dwordx4 s[0:3], s[6:7], 0x0
	s_load_dword s9, s[6:7], 0x2c
	v_mov_b32_e32 v4, s8
	s_waitcnt lgkmcnt(0)
	s_ashr_i32 s6, s13, 31
	s_lshr_b32 s6, s6, 30
	s_add_u32 s6, s12, s6
	s_addc_u32 s7, s13, 0
	s_and_b32 s9, s9, 0xffff
	v_mad_u64_u32 v[4:5], s[8:9], s9, v4, v[0:1]
	s_load_dwordx4 s[8:11], s[2:3], 0x0
	s_ashr_i64 s[2:3], s[6:7], 2
	v_cmp_gt_i64_e32 vcc, s[2:3], v[4:5]
	s_and_saveexec_b64 s[6:7], vcc
	s_cbranch_execz .LBB4_2
; %bb.1:
	s_waitcnt lgkmcnt(0)
	v_add_co_u32_e32 v7, vcc, s10, v4
	s_mov_b32 s14, 0xd2511f53
	v_mul_hi_u32 v8, v7, s14
	v_mov_b32_e32 v1, s11
	v_addc_co_u32_e32 v1, vcc, v5, v1, vcc
	v_xor_b32_e32 v8, s9, v8
	s_mov_b32 s18, 0xcd9e8d57
	v_mul_lo_u32 v7, v7, s14
	v_xor_b32_e32 v1, s8, v1
	v_mul_hi_u32 v9, v8, s18
	v_mul_lo_u32 v10, v1, s14
	v_mul_hi_u32 v1, v1, s14
	s_add_i32 s16, s8, 0x9e3779b9
	s_add_i32 s17, s9, 0xbb67ae85
	v_xor_b32_e32 v9, s16, v9
	v_xor_b32_e32 v7, s17, v7
	v_mul_lo_u32 v8, v8, s18
	v_xor_b32_e32 v1, v7, v1
	v_mul_lo_u32 v7, v9, s14
	v_mul_hi_u32 v9, v9, s14
	v_mul_hi_u32 v11, v1, s18
	s_add_i32 s17, s9, 0x76cf5d0a
	s_add_i32 s16, s8, 0x3c6ef372
	v_xor_b32_e32 v10, s17, v10
	v_mul_lo_u32 v1, v1, s18
	v_xor_b32_e32 v8, s16, v8
	v_xor_b32_e32 v9, v10, v9
	v_xor_b32_e32 v8, v8, v11
	v_mul_hi_u32 v11, v9, s18
	v_mul_lo_u32 v10, v8, s14
	v_mul_hi_u32 v8, v8, s14
	s_add_i32 s16, s8, 0xdaa66d2b
	s_add_i32 s17, s9, 0x32370b8f
	v_xor_b32_e32 v1, s16, v1
	v_xor_b32_e32 v1, v1, v11
	v_xor_b32_e32 v7, s17, v7
	v_mul_lo_u32 v9, v9, s18
	v_xor_b32_e32 v7, v7, v8
	v_mul_lo_u32 v8, v1, s14
	v_mul_hi_u32 v1, v1, s14
	v_mul_hi_u32 v11, v7, s18
	s_add_i32 s17, s9, 0xed9eba14
	s_add_i32 s16, s8, 0x78dde6e4
	v_xor_b32_e32 v10, s17, v10
	v_mul_lo_u32 v7, v7, s18
	v_xor_b32_e32 v9, s16, v9
	v_xor_b32_e32 v1, v10, v1
	v_xor_b32_e32 v9, v9, v11
	v_mul_hi_u32 v11, v1, s18
	v_mul_lo_u32 v10, v9, s14
	v_mul_hi_u32 v9, v9, s14
	s_add_i32 s16, s8, 0x1715609d
	s_add_i32 s17, s9, 0xa9066899
	v_xor_b32_e32 v7, s16, v7
	;; [unrolled: 20-line block ×3, first 2 shown]
	v_xor_b32_e32 v8, v8, v11
	v_xor_b32_e32 v9, s17, v9
	s_movk_i32 s19, 0x753
	v_mul_lo_u32 v7, v7, s18
	v_xor_b32_e32 v1, v9, v1
	v_mul_lo_u32 v9, v8, s19
	v_mul_hi_u32 v8, v8, s14
	v_mul_hi_u32 v11, v1, s18
	s_add_i32 s17, s9, 0xdb3d7428
	s_add_i32 s16, s8, 0xf1bbcdc8
	s_movk_i32 s20, 0x557
	v_xor_b32_e32 v10, s17, v10
	v_mul_lo_u32 v1, v1, s20
	v_xor_b32_e32 v7, s16, v7
	v_xor_b32_e32 v8, v10, v8
	;; [unrolled: 1-line block ×3, first 2 shown]
	v_mul_hi_u32 v11, v8, s18
	s_add_i32 s15, s8, 0x781
	v_xor_b32_e32 v1, s15, v1
	v_mul_lo_u32 v10, v7, s19
	v_xor_b32_e32 v1, v1, v11
	v_and_b32_e32 v1, 0x7ff, v1
	v_mul_hi_u32 v7, v7, s14
	v_cvt_f32_u32_e32 v1, v1
	v_mul_lo_u32 v8, v8, s20
	s_add_i32 s16, s9, 0x2ad
	v_xor_b32_e32 v9, s16, v9
	v_xor_b32_e32 v9, v9, v7
	s_waitcnt vmcnt(0)
	v_sub_f16_sdwa v11, v6, v6 dst_sel:DWORD dst_unused:UNUSED_PAD src0_sel:WORD_1 src1_sel:DWORD
	v_mul_f32_e32 v1, 0x3a000000, v1
	v_fma_mixlo_f16 v7, v1, v11, v6 op_sel_hi:[0,1,1]
	v_and_b32_e32 v1, 0x7ff, v8
	v_and_b32_e32 v8, 0x7ff, v9
	;; [unrolled: 1-line block ×3, first 2 shown]
	v_cvt_f32_u32_e32 v9, v9
	v_cvt_f32_u32_e32 v8, v8
	;; [unrolled: 1-line block ×3, first 2 shown]
	v_mov_b32_e32 v13, s1
	v_mul_f32_e32 v12, 0x3a000000, v9
	v_lshlrev_b64 v[9:10], 3, v[4:5]
	v_mul_f32_e32 v8, 0x3a000000, v8
	v_mul_f32_e32 v1, 0x3a000000, v1
	v_fma_mixlo_f16 v8, v8, v11, v6 op_sel_hi:[0,1,1]
	v_add_co_u32_e32 v9, vcc, s0, v9
	v_addc_co_u32_e32 v10, vcc, v13, v10, vcc
	v_fma_mixhi_f16 v8, v12, v11, v6 op_sel_hi:[0,1,1]
	v_fma_mixhi_f16 v7, v1, v11, v6 op_sel_hi:[0,1,1]
	global_store_dwordx2 v[9:10], v[7:8], off
.LBB4_2:
	s_or_b64 exec, exec, s[6:7]
	v_cmp_eq_u64_e32 vcc, s[2:3], v[4:5]
	s_and_saveexec_b64 s[6:7], vcc
	s_cbranch_execz .LBB4_6
; %bb.3:
	s_load_dwordx2 s[6:7], s[4:5], 0x4
	s_lshl_b64 s[4:5], s[2:3], 2
	s_waitcnt lgkmcnt(0)
	s_lshr_b32 s6, s6, 16
	s_mul_i32 s6, s6, s7
	v_mul_lo_u32 v0, s6, v0
	s_add_u32 s2, s10, s2
	s_addc_u32 s6, s11, s3
	s_mul_hi_u32 s3, s2, 0xd2511f53
	s_mul_i32 s11, s2, 0xd2511f53
	s_xor_b64 s[2:3], s[2:3], s[8:9]
	s_xor_b32 s6, s6, s8
	v_mad_u32_u24 v0, v3, s7, v0
	s_add_i32 s2, s8, 0x9e3779b9
	s_add_i32 s7, s9, 0xbb67ae85
	s_mul_i32 s15, s3, 0xcd9e8d57
	s_mul_hi_u32 s3, s3, 0xcd9e8d57
	s_mul_i32 s14, s6, 0xd2511f53
	s_mul_hi_u32 s6, s6, 0xd2511f53
	s_xor_b32 s2, s2, s3
	s_xor_b32 s3, s11, s7
	s_xor_b32 s3, s3, s6
	s_add_i32 s6, s8, 0x3c6ef372
	s_add_i32 s7, s9, 0x76cf5d0a
	s_mul_i32 s16, s3, 0xcd9e8d57
	s_mul_hi_u32 s3, s3, 0xcd9e8d57
	s_xor_b32 s6, s15, s6
	s_mul_i32 s11, s2, 0xd2511f53
	s_mul_hi_u32 s2, s2, 0xd2511f53
	s_xor_b32 s3, s6, s3
	s_xor_b32 s6, s14, s7
	s_xor_b32 s2, s6, s2
	s_add_i32 s6, s8, 0xdaa66d2b
	s_add_i32 s7, s9, 0x32370b8f
	s_mul_i32 s15, s2, 0xcd9e8d57
	s_mul_hi_u32 s2, s2, 0xcd9e8d57
	s_xor_b32 s6, s16, s6
	;; [unrolled: 10-line block ×7, first 2 shown]
	s_add_i32 s10, s8, 0x8ff34781
	s_mul_i32 s8, s2, 0xd2511f53
	s_mul_hi_u32 s2, s2, 0xd2511f53
	s_xor_b32 s3, s6, s3
	s_xor_b32 s6, s14, s7
	;; [unrolled: 1-line block ×3, first 2 shown]
	s_add_i32 s6, s9, 0x96a522ad
	s_mul_i32 s7, s3, 0xd2511f53
	s_mul_hi_u32 s3, s3, 0xd2511f53
	s_mul_i32 s9, s2, 0xcd9e8d57
	s_mul_hi_u32 s2, s2, 0xcd9e8d57
	s_xor_b32 s10, s11, s10
	s_xor_b32 s6, s8, s6
	;; [unrolled: 1-line block ×4, first 2 shown]
	v_mov_b32_e32 v1, s2
	s_sub_u32 s2, s12, s4
	v_mov_b32_e32 v3, s3
	s_subb_u32 s3, s13, s5
	v_mov_b32_e32 v4, s7
	v_cmp_lt_i64_e64 s[6:7], s[2:3], 1
	v_add_lshl_u32 v0, v0, v2, 4
	v_mov_b32_e32 v2, s9
	s_and_b64 vcc, exec, s[6:7]
	ds_write_b128 v0, v[1:4]
	s_cbranch_vccnz .LBB4_6
; %bb.4:
	s_waitcnt vmcnt(0)
	v_sub_f16_sdwa v1, v6, v6 dst_sel:DWORD dst_unused:UNUSED_PAD src0_sel:WORD_1 src1_sel:DWORD
	v_cvt_f32_f16_e32 v1, v1
	v_cvt_f32_f16_e32 v2, v6
	s_lshl_b64 s[4:5], s[4:5], 1
	s_add_u32 s0, s0, s4
	s_addc_u32 s1, s1, s5
	s_mov_b64 s[4:5], 0
	v_mov_b32_e32 v3, 0
.LBB4_5:                                ; =>This Inner Loop Header: Depth=1
	ds_read_b32 v6, v0
	s_add_u32 s4, s4, 1
	s_addc_u32 s5, s5, 0
	v_mov_b32_e32 v4, s4
	v_mov_b32_e32 v5, s5
	s_waitcnt lgkmcnt(0)
	v_and_b32_e32 v6, 0x7ff, v6
	v_cvt_f32_u32_e32 v6, v6
	v_cmp_gt_i64_e32 vcc, s[2:3], v[4:5]
	v_add_u32_e32 v0, 4, v0
	v_mul_f32_e32 v4, 0x3a000000, v6
	v_fma_mixlo_f16 v4, v4, v1, v2
	global_store_short v3, v4, s[0:1]
	s_add_u32 s0, s0, 2
	s_addc_u32 s1, s1, 0
	s_cbranch_vccnz .LBB4_5
.LBB4_6:
	s_endpgm
	.section	.rodata,"a",@progbits
	.p2align	6, 0x0
	.amdhsa_kernel _ZN2at6native12_GLOBAL__N_124philox_single_key_kernelIN3c104HalfEZZZZNS0_21_philox_uniform_cuda_ERNS_6TensorERKS5_ddENKUlvE_clEvENKUlvE1_clEvENKUlvE_clEvEUlmmE0_ZZZNS0_21_philox_uniform_cuda_ES6_S8_ddENKS9_clEvENKSA_clEvEUlT_E_EEvPSD_PKmlT0_T1_
		.amdhsa_group_segment_fixed_size 16384
		.amdhsa_private_segment_fixed_size 0
		.amdhsa_kernarg_size 288
		.amdhsa_user_sgpr_count 8
		.amdhsa_user_sgpr_private_segment_buffer 1
		.amdhsa_user_sgpr_dispatch_ptr 1
		.amdhsa_user_sgpr_queue_ptr 0
		.amdhsa_user_sgpr_kernarg_segment_ptr 1
		.amdhsa_user_sgpr_dispatch_id 0
		.amdhsa_user_sgpr_flat_scratch_init 0
		.amdhsa_user_sgpr_private_segment_size 0
		.amdhsa_uses_dynamic_stack 0
		.amdhsa_system_sgpr_private_segment_wavefront_offset 0
		.amdhsa_system_sgpr_workgroup_id_x 1
		.amdhsa_system_sgpr_workgroup_id_y 0
		.amdhsa_system_sgpr_workgroup_id_z 0
		.amdhsa_system_sgpr_workgroup_info 0
		.amdhsa_system_vgpr_workitem_id 2
		.amdhsa_next_free_vgpr 14
		.amdhsa_next_free_sgpr 21
		.amdhsa_reserve_vcc 1
		.amdhsa_reserve_flat_scratch 0
		.amdhsa_float_round_mode_32 0
		.amdhsa_float_round_mode_16_64 0
		.amdhsa_float_denorm_mode_32 3
		.amdhsa_float_denorm_mode_16_64 3
		.amdhsa_dx10_clamp 1
		.amdhsa_ieee_mode 1
		.amdhsa_fp16_overflow 0
		.amdhsa_exception_fp_ieee_invalid_op 0
		.amdhsa_exception_fp_denorm_src 0
		.amdhsa_exception_fp_ieee_div_zero 0
		.amdhsa_exception_fp_ieee_overflow 0
		.amdhsa_exception_fp_ieee_underflow 0
		.amdhsa_exception_fp_ieee_inexact 0
		.amdhsa_exception_int_div_zero 0
	.end_amdhsa_kernel
	.section	.text._ZN2at6native12_GLOBAL__N_124philox_single_key_kernelIN3c104HalfEZZZZNS0_21_philox_uniform_cuda_ERNS_6TensorERKS5_ddENKUlvE_clEvENKUlvE1_clEvENKUlvE_clEvEUlmmE0_ZZZNS0_21_philox_uniform_cuda_ES6_S8_ddENKS9_clEvENKSA_clEvEUlT_E_EEvPSD_PKmlT0_T1_,"axG",@progbits,_ZN2at6native12_GLOBAL__N_124philox_single_key_kernelIN3c104HalfEZZZZNS0_21_philox_uniform_cuda_ERNS_6TensorERKS5_ddENKUlvE_clEvENKUlvE1_clEvENKUlvE_clEvEUlmmE0_ZZZNS0_21_philox_uniform_cuda_ES6_S8_ddENKS9_clEvENKSA_clEvEUlT_E_EEvPSD_PKmlT0_T1_,comdat
.Lfunc_end4:
	.size	_ZN2at6native12_GLOBAL__N_124philox_single_key_kernelIN3c104HalfEZZZZNS0_21_philox_uniform_cuda_ERNS_6TensorERKS5_ddENKUlvE_clEvENKUlvE1_clEvENKUlvE_clEvEUlmmE0_ZZZNS0_21_philox_uniform_cuda_ES6_S8_ddENKS9_clEvENKSA_clEvEUlT_E_EEvPSD_PKmlT0_T1_, .Lfunc_end4-_ZN2at6native12_GLOBAL__N_124philox_single_key_kernelIN3c104HalfEZZZZNS0_21_philox_uniform_cuda_ERNS_6TensorERKS5_ddENKUlvE_clEvENKUlvE1_clEvENKUlvE_clEvEUlmmE0_ZZZNS0_21_philox_uniform_cuda_ES6_S8_ddENKS9_clEvENKSA_clEvEUlT_E_EEvPSD_PKmlT0_T1_
                                        ; -- End function
	.set _ZN2at6native12_GLOBAL__N_124philox_single_key_kernelIN3c104HalfEZZZZNS0_21_philox_uniform_cuda_ERNS_6TensorERKS5_ddENKUlvE_clEvENKUlvE1_clEvENKUlvE_clEvEUlmmE0_ZZZNS0_21_philox_uniform_cuda_ES6_S8_ddENKS9_clEvENKSA_clEvEUlT_E_EEvPSD_PKmlT0_T1_.num_vgpr, 14
	.set _ZN2at6native12_GLOBAL__N_124philox_single_key_kernelIN3c104HalfEZZZZNS0_21_philox_uniform_cuda_ERNS_6TensorERKS5_ddENKUlvE_clEvENKUlvE1_clEvENKUlvE_clEvEUlmmE0_ZZZNS0_21_philox_uniform_cuda_ES6_S8_ddENKS9_clEvENKSA_clEvEUlT_E_EEvPSD_PKmlT0_T1_.num_agpr, 0
	.set _ZN2at6native12_GLOBAL__N_124philox_single_key_kernelIN3c104HalfEZZZZNS0_21_philox_uniform_cuda_ERNS_6TensorERKS5_ddENKUlvE_clEvENKUlvE1_clEvENKUlvE_clEvEUlmmE0_ZZZNS0_21_philox_uniform_cuda_ES6_S8_ddENKS9_clEvENKSA_clEvEUlT_E_EEvPSD_PKmlT0_T1_.numbered_sgpr, 21
	.set _ZN2at6native12_GLOBAL__N_124philox_single_key_kernelIN3c104HalfEZZZZNS0_21_philox_uniform_cuda_ERNS_6TensorERKS5_ddENKUlvE_clEvENKUlvE1_clEvENKUlvE_clEvEUlmmE0_ZZZNS0_21_philox_uniform_cuda_ES6_S8_ddENKS9_clEvENKSA_clEvEUlT_E_EEvPSD_PKmlT0_T1_.num_named_barrier, 0
	.set _ZN2at6native12_GLOBAL__N_124philox_single_key_kernelIN3c104HalfEZZZZNS0_21_philox_uniform_cuda_ERNS_6TensorERKS5_ddENKUlvE_clEvENKUlvE1_clEvENKUlvE_clEvEUlmmE0_ZZZNS0_21_philox_uniform_cuda_ES6_S8_ddENKS9_clEvENKSA_clEvEUlT_E_EEvPSD_PKmlT0_T1_.private_seg_size, 0
	.set _ZN2at6native12_GLOBAL__N_124philox_single_key_kernelIN3c104HalfEZZZZNS0_21_philox_uniform_cuda_ERNS_6TensorERKS5_ddENKUlvE_clEvENKUlvE1_clEvENKUlvE_clEvEUlmmE0_ZZZNS0_21_philox_uniform_cuda_ES6_S8_ddENKS9_clEvENKSA_clEvEUlT_E_EEvPSD_PKmlT0_T1_.uses_vcc, 1
	.set _ZN2at6native12_GLOBAL__N_124philox_single_key_kernelIN3c104HalfEZZZZNS0_21_philox_uniform_cuda_ERNS_6TensorERKS5_ddENKUlvE_clEvENKUlvE1_clEvENKUlvE_clEvEUlmmE0_ZZZNS0_21_philox_uniform_cuda_ES6_S8_ddENKS9_clEvENKSA_clEvEUlT_E_EEvPSD_PKmlT0_T1_.uses_flat_scratch, 0
	.set _ZN2at6native12_GLOBAL__N_124philox_single_key_kernelIN3c104HalfEZZZZNS0_21_philox_uniform_cuda_ERNS_6TensorERKS5_ddENKUlvE_clEvENKUlvE1_clEvENKUlvE_clEvEUlmmE0_ZZZNS0_21_philox_uniform_cuda_ES6_S8_ddENKS9_clEvENKSA_clEvEUlT_E_EEvPSD_PKmlT0_T1_.has_dyn_sized_stack, 0
	.set _ZN2at6native12_GLOBAL__N_124philox_single_key_kernelIN3c104HalfEZZZZNS0_21_philox_uniform_cuda_ERNS_6TensorERKS5_ddENKUlvE_clEvENKUlvE1_clEvENKUlvE_clEvEUlmmE0_ZZZNS0_21_philox_uniform_cuda_ES6_S8_ddENKS9_clEvENKSA_clEvEUlT_E_EEvPSD_PKmlT0_T1_.has_recursion, 0
	.set _ZN2at6native12_GLOBAL__N_124philox_single_key_kernelIN3c104HalfEZZZZNS0_21_philox_uniform_cuda_ERNS_6TensorERKS5_ddENKUlvE_clEvENKUlvE1_clEvENKUlvE_clEvEUlmmE0_ZZZNS0_21_philox_uniform_cuda_ES6_S8_ddENKS9_clEvENKSA_clEvEUlT_E_EEvPSD_PKmlT0_T1_.has_indirect_call, 0
	.section	.AMDGPU.csdata,"",@progbits
; Kernel info:
; codeLenInByte = 1736
; TotalNumSgprs: 25
; NumVgprs: 14
; ScratchSize: 0
; MemoryBound: 0
; FloatMode: 240
; IeeeMode: 1
; LDSByteSize: 16384 bytes/workgroup (compile time only)
; SGPRBlocks: 3
; VGPRBlocks: 3
; NumSGPRsForWavesPerEU: 25
; NumVGPRsForWavesPerEU: 14
; Occupancy: 8
; WaveLimiterHint : 0
; COMPUTE_PGM_RSRC2:SCRATCH_EN: 0
; COMPUTE_PGM_RSRC2:USER_SGPR: 8
; COMPUTE_PGM_RSRC2:TRAP_HANDLER: 0
; COMPUTE_PGM_RSRC2:TGID_X_EN: 1
; COMPUTE_PGM_RSRC2:TGID_Y_EN: 0
; COMPUTE_PGM_RSRC2:TGID_Z_EN: 0
; COMPUTE_PGM_RSRC2:TIDIG_COMP_CNT: 2
	.section	.text._ZN2at6native12_GLOBAL__N_123philox_multi_key_kernelIN3c104HalfEZZZZNS0_21_philox_uniform_cuda_ERNS_6TensorERKS5_ddENKUlvE_clEvENKUlvE1_clEvENKUlvE_clEvEUlmmE0_ZZZNS0_21_philox_uniform_cuda_ES6_S8_ddENKS9_clEvENKSA_clEvEUlT_E_EEvPSD_PKmllT0_T1_16OffsetCalculatorILi1EjLb0EE,"axG",@progbits,_ZN2at6native12_GLOBAL__N_123philox_multi_key_kernelIN3c104HalfEZZZZNS0_21_philox_uniform_cuda_ERNS_6TensorERKS5_ddENKUlvE_clEvENKUlvE1_clEvENKUlvE_clEvEUlmmE0_ZZZNS0_21_philox_uniform_cuda_ES6_S8_ddENKS9_clEvENKSA_clEvEUlT_E_EEvPSD_PKmllT0_T1_16OffsetCalculatorILi1EjLb0EE,comdat
	.globl	_ZN2at6native12_GLOBAL__N_123philox_multi_key_kernelIN3c104HalfEZZZZNS0_21_philox_uniform_cuda_ERNS_6TensorERKS5_ddENKUlvE_clEvENKUlvE1_clEvENKUlvE_clEvEUlmmE0_ZZZNS0_21_philox_uniform_cuda_ES6_S8_ddENKS9_clEvENKSA_clEvEUlT_E_EEvPSD_PKmllT0_T1_16OffsetCalculatorILi1EjLb0EE ; -- Begin function _ZN2at6native12_GLOBAL__N_123philox_multi_key_kernelIN3c104HalfEZZZZNS0_21_philox_uniform_cuda_ERNS_6TensorERKS5_ddENKUlvE_clEvENKUlvE1_clEvENKUlvE_clEvEUlmmE0_ZZZNS0_21_philox_uniform_cuda_ES6_S8_ddENKS9_clEvENKSA_clEvEUlT_E_EEvPSD_PKmllT0_T1_16OffsetCalculatorILi1EjLb0EE
	.p2align	8
	.type	_ZN2at6native12_GLOBAL__N_123philox_multi_key_kernelIN3c104HalfEZZZZNS0_21_philox_uniform_cuda_ERNS_6TensorERKS5_ddENKUlvE_clEvENKUlvE1_clEvENKUlvE_clEvEUlmmE0_ZZZNS0_21_philox_uniform_cuda_ES6_S8_ddENKS9_clEvENKSA_clEvEUlT_E_EEvPSD_PKmllT0_T1_16OffsetCalculatorILi1EjLb0EE,@function
_ZN2at6native12_GLOBAL__N_123philox_multi_key_kernelIN3c104HalfEZZZZNS0_21_philox_uniform_cuda_ERNS_6TensorERKS5_ddENKUlvE_clEvENKUlvE1_clEvENKUlvE_clEvEUlmmE0_ZZZNS0_21_philox_uniform_cuda_ES6_S8_ddENKS9_clEvENKSA_clEvEUlT_E_EEvPSD_PKmllT0_T1_16OffsetCalculatorILi1EjLb0EE: ; @_ZN2at6native12_GLOBAL__N_123philox_multi_key_kernelIN3c104HalfEZZZZNS0_21_philox_uniform_cuda_ERNS_6TensorERKS5_ddENKUlvE_clEvENKUlvE1_clEvENKUlvE_clEvEUlmmE0_ZZZNS0_21_philox_uniform_cuda_ES6_S8_ddENKS9_clEvENKSA_clEvEUlT_E_EEvPSD_PKmllT0_T1_16OffsetCalculatorILi1EjLb0EE
; %bb.0:
	s_load_dwordx4 s[0:3], s[4:5], 0x10
	s_load_dword s7, s[4:5], 0x13c
	v_mov_b32_e32 v4, 0
	v_mov_b32_e32 v1, v4
	;; [unrolled: 1-line block ×3, first 2 shown]
	s_waitcnt lgkmcnt(0)
	s_add_u32 s8, s2, 3
	s_addc_u32 s9, s3, 0
	s_ashr_i32 s10, s9, 31
	s_lshr_b32 s10, s10, 30
	s_add_u32 s8, s8, s10
	s_addc_u32 s9, s9, 0
	s_and_b32 s7, s7, 0xffff
	s_ashr_i64 s[24:25], s[8:9], 2
	v_mad_u64_u32 v[2:3], s[6:7], s7, v2, v[0:1]
	s_mul_i32 s1, s24, s1
	s_mul_hi_u32 s8, s24, s0
	s_add_i32 s1, s8, s1
	s_mul_i32 s6, s25, s0
	s_add_i32 s1, s1, s6
	s_mul_i32 s0, s24, s0
	v_cmp_gt_i64_e32 vcc, s[0:1], v[2:3]
	s_and_saveexec_b64 s[0:1], vcc
	s_cbranch_execz .LBB5_23
; %bb.1:
	global_load_dword v8, v4, s[4:5] offset:34
	v_or_b32_e32 v5, s25, v3
	v_cmp_ne_u64_e32 vcc, 0, v[4:5]
                                        ; implicit-def: $vgpr0_vgpr1
	s_and_saveexec_b64 s[0:1], vcc
	s_xor_b64 s[6:7], exec, s[0:1]
	s_cbranch_execz .LBB5_3
; %bb.2:
	s_ashr_i32 s8, s25, 31
	s_add_u32 s0, s24, s8
	s_mov_b32 s9, s8
	s_addc_u32 s1, s25, s8
	s_xor_b64 s[10:11], s[0:1], s[8:9]
	v_cvt_f32_u32_e32 v0, s10
	v_cvt_f32_u32_e32 v1, s11
	s_sub_u32 s9, 0, s10
	s_subb_u32 s12, 0, s11
	v_ashrrev_i32_e32 v6, 31, v3
	v_madmk_f32 v0, v1, 0x4f800000, v0
	v_rcp_f32_e32 v0, v0
	v_mul_f32_e32 v0, 0x5f7ffffc, v0
	v_mul_f32_e32 v1, 0x2f800000, v0
	v_trunc_f32_e32 v1, v1
	v_madmk_f32 v0, v1, 0xcf800000, v0
	v_cvt_u32_f32_e32 v1, v1
	v_cvt_u32_f32_e32 v0, v0
	v_readfirstlane_b32 s13, v1
	v_readfirstlane_b32 s0, v0
	s_mul_i32 s1, s9, s13
	s_mul_hi_u32 s15, s9, s0
	s_mul_i32 s14, s12, s0
	s_add_i32 s1, s15, s1
	s_add_i32 s1, s1, s14
	s_mul_i32 s16, s9, s0
	s_mul_i32 s15, s0, s1
	s_mul_hi_u32 s17, s0, s16
	s_mul_hi_u32 s14, s0, s1
	s_add_u32 s15, s17, s15
	s_addc_u32 s14, 0, s14
	s_mul_hi_u32 s18, s13, s16
	s_mul_i32 s16, s13, s16
	s_add_u32 s15, s15, s16
	s_mul_hi_u32 s17, s13, s1
	s_addc_u32 s14, s14, s18
	s_addc_u32 s15, s17, 0
	s_mul_i32 s1, s13, s1
	s_add_u32 s1, s14, s1
	s_addc_u32 s14, 0, s15
	s_add_u32 s15, s0, s1
	s_cselect_b64 s[0:1], -1, 0
	s_cmp_lg_u64 s[0:1], 0
	s_addc_u32 s13, s13, s14
	s_mul_i32 s0, s9, s13
	s_mul_hi_u32 s1, s9, s15
	s_add_i32 s0, s1, s0
	s_mul_i32 s12, s12, s15
	s_add_i32 s0, s0, s12
	s_mul_i32 s9, s9, s15
	s_mul_hi_u32 s12, s13, s9
	s_mul_i32 s14, s13, s9
	s_mul_i32 s17, s15, s0
	s_mul_hi_u32 s9, s15, s9
	s_mul_hi_u32 s16, s15, s0
	s_add_u32 s9, s9, s17
	s_addc_u32 s16, 0, s16
	s_add_u32 s9, s9, s14
	s_mul_hi_u32 s1, s13, s0
	s_addc_u32 s9, s16, s12
	s_addc_u32 s1, s1, 0
	s_mul_i32 s0, s13, s0
	s_add_u32 s0, s9, s0
	s_addc_u32 s9, 0, s1
	s_add_u32 s12, s15, s0
	s_cselect_b64 s[0:1], -1, 0
	s_cmp_lg_u64 s[0:1], 0
	v_add_co_u32_e32 v0, vcc, v2, v6
	s_addc_u32 s9, s13, s9
	v_xor_b32_e32 v7, v0, v6
	v_mad_u64_u32 v[0:1], s[0:1], v7, s9, 0
	v_mul_hi_u32 v5, v7, s12
	v_addc_co_u32_e32 v4, vcc, v3, v6, vcc
	v_xor_b32_e32 v9, v4, v6
	v_add_co_u32_e32 v10, vcc, v5, v0
	v_addc_co_u32_e32 v11, vcc, 0, v1, vcc
	v_mad_u64_u32 v[0:1], s[0:1], v9, s12, 0
	v_mad_u64_u32 v[4:5], s[0:1], v9, s9, 0
	v_add_co_u32_e32 v0, vcc, v10, v0
	v_addc_co_u32_e32 v0, vcc, v11, v1, vcc
	v_addc_co_u32_e32 v1, vcc, 0, v5, vcc
	v_add_co_u32_e32 v4, vcc, v0, v4
	v_addc_co_u32_e32 v5, vcc, 0, v1, vcc
	v_mul_lo_u32 v10, s11, v4
	v_mul_lo_u32 v11, s10, v5
	v_mad_u64_u32 v[0:1], s[0:1], s10, v4, 0
	v_add3_u32 v1, v1, v11, v10
	v_sub_u32_e32 v10, v9, v1
	v_mov_b32_e32 v11, s11
	v_sub_co_u32_e32 v0, vcc, v7, v0
	v_subb_co_u32_e64 v7, s[0:1], v10, v11, vcc
	v_subrev_co_u32_e64 v10, s[0:1], s10, v0
	v_subbrev_co_u32_e64 v7, s[0:1], 0, v7, s[0:1]
	v_cmp_le_u32_e64 s[0:1], s11, v7
	v_cndmask_b32_e64 v11, 0, -1, s[0:1]
	v_cmp_le_u32_e64 s[0:1], s10, v10
	v_cndmask_b32_e64 v10, 0, -1, s[0:1]
	v_cmp_eq_u32_e64 s[0:1], s11, v7
	v_cndmask_b32_e64 v7, v11, v10, s[0:1]
	v_add_co_u32_e64 v10, s[0:1], 2, v4
	v_subb_co_u32_e32 v1, vcc, v9, v1, vcc
	v_addc_co_u32_e64 v11, s[0:1], 0, v5, s[0:1]
	v_cmp_le_u32_e32 vcc, s11, v1
	v_add_co_u32_e64 v12, s[0:1], 1, v4
	v_cndmask_b32_e64 v9, 0, -1, vcc
	v_cmp_le_u32_e32 vcc, s10, v0
	v_addc_co_u32_e64 v13, s[0:1], 0, v5, s[0:1]
	v_cndmask_b32_e64 v0, 0, -1, vcc
	v_cmp_eq_u32_e32 vcc, s11, v1
	v_cmp_ne_u32_e64 s[0:1], 0, v7
	v_cndmask_b32_e32 v0, v9, v0, vcc
	v_cndmask_b32_e64 v7, v13, v11, s[0:1]
	v_cmp_ne_u32_e32 vcc, 0, v0
	v_cndmask_b32_e64 v1, v12, v10, s[0:1]
	v_cndmask_b32_e32 v0, v5, v7, vcc
	v_cndmask_b32_e32 v1, v4, v1, vcc
	v_xor_b32_e32 v4, s8, v6
	v_xor_b32_e32 v5, v0, v4
	;; [unrolled: 1-line block ×3, first 2 shown]
	v_sub_co_u32_e32 v0, vcc, v0, v4
	v_subb_co_u32_e32 v1, vcc, v5, v4, vcc
.LBB5_3:
	s_andn2_saveexec_b64 s[0:1], s[6:7]
	s_cbranch_execz .LBB5_5
; %bb.4:
	v_cvt_f32_u32_e32 v0, s24
	s_sub_i32 s6, 0, s24
	v_rcp_iflag_f32_e32 v0, v0
	v_mul_f32_e32 v0, 0x4f7ffffe, v0
	v_cvt_u32_f32_e32 v0, v0
	v_mul_lo_u32 v1, s6, v0
	v_mul_hi_u32 v1, v0, v1
	v_add_u32_e32 v0, v0, v1
	v_mul_hi_u32 v0, v2, v0
	v_mul_lo_u32 v1, v0, s24
	v_add_u32_e32 v4, 1, v0
	v_sub_u32_e32 v1, v2, v1
	v_subrev_u32_e32 v5, s24, v1
	v_cmp_le_u32_e32 vcc, s24, v1
	v_cndmask_b32_e32 v1, v1, v5, vcc
	v_cndmask_b32_e32 v0, v0, v4, vcc
	v_add_u32_e32 v4, 1, v0
	v_cmp_le_u32_e32 vcc, s24, v1
	v_cndmask_b32_e32 v0, v0, v4, vcc
	v_mov_b32_e32 v1, 0
.LBB5_5:
	s_or_b64 exec, exec, s[0:1]
	s_load_dword s30, s[4:5], 0x28
	s_load_dwordx2 s[6:7], s[4:5], 0x8
	s_add_u32 s26, s4, 40
	s_addc_u32 s27, s5, 0
	s_waitcnt lgkmcnt(0)
	s_add_i32 s0, s30, -1
	s_cmp_lt_u32 s0, 2
	s_cbranch_scc1 .LBB5_11
; %bb.6:
	s_cmp_lg_u32 s30, 0
	s_mov_b32 s31, 0
	s_cbranch_scc0 .LBB5_12
; %bb.7:
	s_min_u32 s33, s0, 15
	s_add_i32 s33, s33, 1
	s_cmp_eq_u32 s0, 2
	s_cbranch_scc1 .LBB5_13
; %bb.8:
	s_and_b32 s31, s33, 28
	s_add_u32 s0, s26, 0xc4
	s_addc_u32 s1, s27, 0
	s_mov_b32 s34, 0
	v_mov_b32_e32 v4, 0
	s_mov_b64 s[28:29], s[26:27]
	v_mov_b32_e32 v5, v0
.LBB5_9:                                ; =>This Inner Loop Header: Depth=1
	s_load_dwordx8 s[8:15], s[28:29], 0x4
	s_load_dwordx4 s[16:19], s[28:29], 0x24
	s_load_dwordx4 s[20:23], s[0:1], 0x0
	s_add_u32 s28, s28, 48
	s_addc_u32 s29, s29, 0
	s_waitcnt lgkmcnt(0)
	v_mul_hi_u32 v6, s9, v5
	s_add_i32 s34, s34, 4
	s_add_u32 s0, s0, 16
	s_addc_u32 s1, s1, 0
	v_add_u32_e32 v6, v5, v6
	v_lshrrev_b32_e32 v6, s10, v6
	v_mul_lo_u32 v7, v6, s8
	v_mul_hi_u32 v9, s12, v6
	s_cmp_lg_u32 s31, s34
	v_sub_u32_e32 v5, v5, v7
	v_add_u32_e32 v7, v6, v9
	v_lshrrev_b32_e32 v7, s13, v7
	v_mul_lo_u32 v9, v5, s20
	v_mul_hi_u32 v5, s15, v7
	v_mul_lo_u32 v11, v7, s11
	v_add_u32_e32 v5, v7, v5
	v_lshrrev_b32_e32 v10, s16, v5
	v_mul_hi_u32 v5, s18, v10
	v_sub_u32_e32 v6, v6, v11
	v_mul_lo_u32 v11, v10, s14
	v_mul_lo_u32 v6, v6, s21
	v_add_u32_e32 v5, v10, v5
	v_lshrrev_b32_e32 v5, s19, v5
	v_mul_lo_u32 v12, v5, s17
	v_sub_u32_e32 v7, v7, v11
	v_mul_lo_u32 v7, v7, s22
	v_add3_u32 v4, v9, v4, v6
	v_sub_u32_e32 v10, v10, v12
	v_mul_lo_u32 v10, v10, s23
	v_add3_u32 v4, v7, v4, v10
	s_cbranch_scc1 .LBB5_9
; %bb.10:
	s_and_b32 s10, s33, 3
	s_cmp_eq_u32 s10, 0
	s_cbranch_scc0 .LBB5_14
	s_branch .LBB5_16
.LBB5_11:
                                        ; implicit-def: $vgpr4
	s_load_dwordx2 s[0:1], s[4:5], 0x0
	s_branch .LBB5_17
.LBB5_12:
	v_mov_b32_e32 v4, 0
	s_branch .LBB5_16
.LBB5_13:
	v_mov_b32_e32 v4, 0
	v_mov_b32_e32 v5, v0
	s_and_b32 s10, s33, 3
	s_cmp_eq_u32 s10, 0
	s_cbranch_scc1 .LBB5_16
.LBB5_14:
	s_lshl_b32 s0, s31, 2
	s_add_u32 s0, s26, s0
	s_addc_u32 s1, s27, 0
	s_add_u32 s0, s0, 0xc4
	s_addc_u32 s1, s1, 0
	s_mul_i32 s8, s31, 12
	s_add_u32 s8, s26, s8
	s_addc_u32 s9, s27, 0
.LBB5_15:                               ; =>This Inner Loop Header: Depth=1
	s_load_dwordx2 s[12:13], s[8:9], 0x4
	s_load_dword s11, s[8:9], 0xc
	s_add_u32 s8, s8, 12
	s_addc_u32 s9, s9, 0
	s_waitcnt lgkmcnt(0)
	v_mul_hi_u32 v6, s13, v5
	s_load_dword s13, s[0:1], 0x0
	s_add_u32 s0, s0, 4
	s_addc_u32 s1, s1, 0
	v_add_u32_e32 v6, v5, v6
	v_lshrrev_b32_e32 v6, s11, v6
	v_mul_lo_u32 v7, v6, s12
	s_add_i32 s10, s10, -1
	s_cmp_lg_u32 s10, 0
	v_sub_u32_e32 v5, v5, v7
	s_waitcnt lgkmcnt(0)
	v_mad_u64_u32 v[4:5], s[12:13], v5, s13, v[4:5]
	v_mov_b32_e32 v5, v6
	s_cbranch_scc1 .LBB5_15
.LBB5_16:
	s_load_dwordx2 s[0:1], s[4:5], 0x0
	s_cbranch_execnz .LBB5_19
.LBB5_17:
	s_load_dwordx4 s[8:11], s[26:27], 0x4
	s_load_dword s4, s[26:27], 0xc4
	s_cmp_lt_u32 s30, 2
	s_waitcnt lgkmcnt(0)
	v_mul_hi_u32 v4, v0, s9
	v_add_u32_e32 v4, v4, v0
	v_lshrrev_b32_e32 v5, s10, v4
	v_mul_lo_u32 v4, v5, s8
	v_sub_u32_e32 v4, v0, v4
	v_mul_lo_u32 v4, v4, s4
	s_cbranch_scc1 .LBB5_19
; %bb.18:
	s_load_dwordx4 s[8:11], s[26:27], 0x10
	s_load_dword s4, s[26:27], 0xc8
	s_waitcnt lgkmcnt(0)
	v_mul_hi_u32 v6, s9, v5
	v_add_u32_e32 v6, v5, v6
	v_lshrrev_b32_e32 v6, s10, v6
	v_mul_lo_u32 v6, v6, s8
	v_sub_u32_e32 v5, v5, v6
	v_mad_u64_u32 v[4:5], s[4:5], v5, s4, v[4:5]
.LBB5_19:
	v_mov_b32_e32 v5, 0
	v_lshlrev_b64 v[6:7], 3, v[4:5]
	v_add_u32_e32 v4, 1, v4
	v_mov_b32_e32 v9, s7
	v_add_co_u32_e32 v6, vcc, s6, v6
	v_lshlrev_b64 v[4:5], 3, v[4:5]
	v_addc_co_u32_e32 v7, vcc, v9, v7, vcc
	v_add_co_u32_e32 v4, vcc, s6, v4
	v_addc_co_u32_e32 v5, vcc, v9, v5, vcc
	global_load_dwordx2 v[6:7], v[6:7], off
	v_mul_lo_u32 v9, v1, s24
	global_load_dwordx2 v[12:13], v[4:5], off
	v_mul_lo_u32 v10, v0, s25
	v_mad_u64_u32 v[4:5], s[4:5], v0, s24, 0
	s_mov_b32 s6, 0xd2511f53
	s_mov_b32 s7, 0xcd9e8d57
	v_add3_u32 v5, v5, v10, v9
	v_sub_co_u32_e32 v2, vcc, v2, v4
	v_subb_co_u32_e32 v3, vcc, v3, v5, vcc
	s_and_b32 s8, s2, 3
	s_mov_b32 s9, 0
	s_cmp_lg_u64 s[8:9], 0
	s_cselect_b64 s[8:9], -1, 0
	s_ashr_i32 s10, s3, 31
	s_lshr_b32 s10, s10, 30
	s_add_u32 s10, s2, s10
	s_addc_u32 s11, s3, 0
	s_ashr_i64 s[10:11], s[10:11], 2
	s_mov_b64 s[4:5], 0
	s_waitcnt vmcnt(1)
	v_add_u32_e32 v20, 0xbb67ae85, v7
	v_add_u32_e32 v22, 0x76cf5d0a, v7
	s_waitcnt vmcnt(0)
	v_add_co_u32_e32 v23, vcc, v12, v2
	v_mul_hi_u32 v16, v23, s6
	v_mul_lo_u32 v23, v23, s6
	v_addc_co_u32_e32 v12, vcc, v13, v3, vcc
	v_xor_b32_e32 v24, v12, v6
	v_xor_b32_e32 v20, v23, v20
	v_mul_hi_u32 v23, v24, s6
	v_xor_b32_e32 v25, v16, v7
	v_add_u32_e32 v19, 0x9e3779b9, v6
	v_add_u32_e32 v21, 0x3c6ef372, v6
	v_xor_b32_e32 v20, v20, v23
	v_mul_lo_u32 v23, v24, s6
	v_add_u32_e32 v17, 0x32370b8f, v7
	v_add_u32_e32 v14, 0xed9eba14, v7
	;; [unrolled: 1-line block ×3, first 2 shown]
	v_xor_b32_e32 v22, v23, v22
	v_mul_hi_u32 v23, v25, s7
	v_add_u32_e32 v10, 0x78dde6e4, v6
	v_add_u32_e32 v11, 0x1715609d, v6
	;; [unrolled: 1-line block ×3, first 2 shown]
	v_xor_b32_e32 v19, v19, v23
	v_mul_lo_u32 v23, v25, s7
	v_add_u32_e32 v13, 0x646e171e, v7
	v_add_u32_e32 v9, 0xb54cda56, v6
	;; [unrolled: 1-line block ×3, first 2 shown]
	v_xor_b32_e32 v21, v23, v21
	v_mul_hi_u32 v23, v20, s7
	v_mul_lo_u32 v20, v20, s7
	v_add_u32_e32 v15, 0x5384540f, v6
	v_add_u32_e32 v4, 0x8ff34781, v6
	v_xor_b32_e32 v21, v21, v23
	v_mul_hi_u32 v23, v19, s6
	v_xor_b32_e32 v18, v20, v18
	v_add_u32_e32 v6, 0xf1bbcdc8, v6
	v_add_u32_e32 v16, 0xdb3d7428, v7
	v_xor_b32_e32 v22, v22, v23
	v_mul_lo_u32 v23, v1, s2
	v_mul_lo_u32 v1, v19, s6
	v_mul_lo_u32 v19, v21, s6
	v_add_u32_e32 v7, 0x96a522ad, v7
	v_cmp_le_i64_e32 vcc, s[10:11], v[2:3]
	v_xor_b32_e32 v1, v1, v17
	v_mul_hi_u32 v17, v21, s6
	v_xor_b32_e32 v14, v19, v14
	v_mul_lo_u32 v19, v22, s7
	v_lshlrev_b64 v[2:3], 2, v[2:3]
	v_xor_b32_e32 v1, v1, v17
	v_mul_hi_u32 v17, v22, s7
	v_mul_hi_u32 v21, v1, s7
	v_mul_lo_u32 v1, v1, s7
	v_xor_b32_e32 v10, v19, v10
	v_xor_b32_e32 v17, v18, v17
	;; [unrolled: 1-line block ×4, first 2 shown]
	v_mul_hi_u32 v11, v17, s6
	v_mul_lo_u32 v17, v17, s6
	v_mul_hi_u32 v18, v10, s6
	v_mul_lo_u32 v10, v10, s6
	v_xor_b32_e32 v11, v14, v11
	v_xor_b32_e32 v5, v17, v5
	;; [unrolled: 1-line block ×4, first 2 shown]
	v_mul_hi_u32 v13, v11, s7
	v_mul_lo_u32 v11, v11, s7
	v_mul_hi_u32 v14, v5, s7
	v_mul_lo_u32 v5, v5, s7
	v_xor_b32_e32 v1, v1, v13
	v_xor_b32_e32 v9, v11, v9
	;; [unrolled: 1-line block ×3, first 2 shown]
	v_mul_hi_u32 v11, v1, s6
	v_mul_lo_u32 v1, v1, s6
	v_mul_hi_u32 v13, v9, s6
	v_xor_b32_e32 v5, v5, v15
	v_xor_b32_e32 v10, v10, v11
	;; [unrolled: 1-line block ×4, first 2 shown]
	v_mul_hi_u32 v11, v10, s7
	v_mul_lo_u32 v10, v10, s7
	v_mul_hi_u32 v12, v1, s7
	v_mul_lo_u32 v9, v9, s6
	v_xor_b32_e32 v5, v5, v11
	v_xor_b32_e32 v6, v10, v6
	;; [unrolled: 1-line block ×3, first 2 shown]
	v_mul_hi_u32 v10, v5, s6
	v_mul_lo_u32 v5, v5, s6
	v_mul_lo_u32 v1, v1, s7
	v_mul_hi_u32 v11, v6, s6
	v_xor_b32_e32 v9, v9, v16
	v_xor_b32_e32 v9, v9, v10
	v_xor_b32_e32 v5, v5, v7
	v_mul_lo_u32 v20, v0, s3
	v_xor_b32_e32 v4, v1, v4
	v_mad_u64_u32 v[0:1], s[10:11], v0, s2, v[2:3]
	v_mul_hi_u32 v12, v9, s7
	v_mul_lo_u32 v10, v9, s7
	v_xor_b32_e32 v9, v5, v11
	v_sub_f16_sdwa v5, v8, v8 dst_sel:DWORD dst_unused:UNUSED_PAD src0_sel:WORD_1 src1_sel:DWORD
	v_cvt_f32_f16_e32 v7, v5
	v_cvt_f32_f16_e32 v8, v8
	v_xor_b32_e32 v4, v4, v12
	v_add3_u32 v1, v23, v1, v20
	s_or_b64 s[6:7], s[8:9], vcc
	s_and_saveexec_b64 s[8:9], s[6:7]
	s_xor_b64 s[6:7], exec, s[8:9]
	s_cbranch_execnz .LBB5_24
; %bb.20:
	s_andn2_saveexec_b64 s[2:3], s[6:7]
	s_cbranch_execnz .LBB5_31
.LBB5_21:
	s_or_b64 exec, exec, s[2:3]
	s_and_b64 exec, exec, s[4:5]
	s_cbranch_execz .LBB5_23
.LBB5_22:
	s_movk_i32 s2, 0x753
	v_mul_lo_u32 v2, v6, s2
	v_lshlrev_b64 v[0:1], 1, v[0:1]
	s_waitcnt lgkmcnt(0)
	v_mov_b32_e32 v3, s1
	v_add_co_u32_e32 v0, vcc, s0, v0
	v_and_b32_e32 v2, 0x7ff, v2
	v_cvt_f32_u32_e32 v2, v2
	v_addc_co_u32_e32 v1, vcc, v3, v1, vcc
	v_mul_f32_e32 v2, 0x3a000000, v2
	v_fma_mixlo_f16 v2, v2, v7, v8
	global_store_short v[0:1], v2, off offset:6
.LBB5_23:
	s_endpgm
.LBB5_24:
	v_cmp_gt_i64_e32 vcc, s[2:3], v[2:3]
	s_mov_b64 s[8:9], 0
	s_and_saveexec_b64 s[4:5], vcc
	s_cbranch_execz .LBB5_30
; %bb.25:
	v_and_b32_e32 v4, 0x7ff, v4
	v_cvt_f32_u32_e32 v13, v4
	v_lshlrev_b64 v[11:12], 1, v[0:1]
	s_waitcnt lgkmcnt(0)
	v_mov_b32_e32 v5, s1
	v_add_co_u32_e32 v4, vcc, s0, v11
	v_mul_f32_e32 v11, 0x3a000000, v13
	v_addc_co_u32_e32 v5, vcc, v5, v12, vcc
	v_fma_mixlo_f16 v11, v11, v7, v8
	global_store_short v[4:5], v11, off
	v_or_b32_e32 v11, 1, v2
	v_mov_b32_e32 v12, v3
	v_cmp_gt_u64_e32 vcc, s[2:3], v[11:12]
	s_mov_b64 s[10:11], 0
	s_and_saveexec_b64 s[8:9], vcc
	s_cbranch_execz .LBB5_29
; %bb.26:
	v_and_b32_e32 v10, 0x7ff, v10
	v_cvt_f32_u32_e32 v12, v10
	v_or_b32_e32 v10, 2, v2
	v_mov_b32_e32 v11, v3
	v_cmp_gt_u64_e32 vcc, s[2:3], v[10:11]
	v_mul_f32_e32 v10, 0x3a000000, v12
	v_fma_mixlo_f16 v10, v10, v7, v8
	s_mov_b64 s[12:13], 0
	global_store_short v[4:5], v10, off offset:2
	s_and_saveexec_b64 s[10:11], vcc
	s_xor_b64 s[10:11], exec, s[10:11]
	s_cbranch_execz .LBB5_28
; %bb.27:
	v_and_b32_e32 v9, 0x7ff, v9
	v_cvt_f32_u32_e32 v9, v9
	v_or_b32_e32 v2, 3, v2
	v_cmp_gt_u64_e32 vcc, s[2:3], v[2:3]
	s_and_b64 s[12:13], vcc, exec
	v_mul_f32_e32 v2, 0x3a000000, v9
	v_fma_mixlo_f16 v2, v2, v7, v8
	global_store_short v[4:5], v2, off offset:4
.LBB5_28:
	s_or_b64 exec, exec, s[10:11]
	s_and_b64 s[10:11], s[12:13], exec
.LBB5_29:
	s_or_b64 exec, exec, s[8:9]
	s_and_b64 s[8:9], s[10:11], exec
.LBB5_30:
	s_or_b64 exec, exec, s[4:5]
	s_and_b64 s[4:5], s[8:9], exec
                                        ; implicit-def: $vgpr4
                                        ; implicit-def: $vgpr10
                                        ; implicit-def: $vgpr9
	s_andn2_saveexec_b64 s[2:3], s[6:7]
	s_cbranch_execz .LBB5_21
.LBB5_31:
	v_and_b32_e32 v2, 0x7ff, v4
	v_cvt_f32_u32_e32 v2, v2
	v_and_b32_e32 v4, 0x7ff, v9
	v_and_b32_e32 v3, 0x7ff, v10
	v_cvt_f32_u32_e32 v4, v4
	v_cvt_f32_u32_e32 v3, v3
	v_mul_f32_e32 v2, 0x3a000000, v2
	v_fma_mixlo_f16 v5, v2, v7, v8
	v_mul_f32_e32 v2, 0x3a000000, v4
	v_mul_f32_e32 v9, 0x3a000000, v3
	v_fma_mixlo_f16 v4, v2, v7, v8
	v_lshlrev_b64 v[2:3], 1, v[0:1]
	s_waitcnt lgkmcnt(0)
	v_mov_b32_e32 v10, s1
	v_add_co_u32_e32 v2, vcc, s0, v2
	v_addc_co_u32_e32 v3, vcc, v10, v3, vcc
	s_or_b64 s[4:5], s[4:5], exec
	v_fma_mixhi_f16 v5, v9, v7, v8
	global_store_short v[2:3], v4, off offset:4
	global_store_dword v[2:3], v5, off
	s_or_b64 exec, exec, s[2:3]
	s_and_b64 exec, exec, s[4:5]
	s_cbranch_execnz .LBB5_22
	s_branch .LBB5_23
	.section	.rodata,"a",@progbits
	.p2align	6, 0x0
	.amdhsa_kernel _ZN2at6native12_GLOBAL__N_123philox_multi_key_kernelIN3c104HalfEZZZZNS0_21_philox_uniform_cuda_ERNS_6TensorERKS5_ddENKUlvE_clEvENKUlvE1_clEvENKUlvE_clEvEUlmmE0_ZZZNS0_21_philox_uniform_cuda_ES6_S8_ddENKS9_clEvENKSA_clEvEUlT_E_EEvPSD_PKmllT0_T1_16OffsetCalculatorILi1EjLb0EE
		.amdhsa_group_segment_fixed_size 0
		.amdhsa_private_segment_fixed_size 0
		.amdhsa_kernarg_size 560
		.amdhsa_user_sgpr_count 6
		.amdhsa_user_sgpr_private_segment_buffer 1
		.amdhsa_user_sgpr_dispatch_ptr 0
		.amdhsa_user_sgpr_queue_ptr 0
		.amdhsa_user_sgpr_kernarg_segment_ptr 1
		.amdhsa_user_sgpr_dispatch_id 0
		.amdhsa_user_sgpr_flat_scratch_init 0
		.amdhsa_user_sgpr_private_segment_size 0
		.amdhsa_uses_dynamic_stack 0
		.amdhsa_system_sgpr_private_segment_wavefront_offset 0
		.amdhsa_system_sgpr_workgroup_id_x 1
		.amdhsa_system_sgpr_workgroup_id_y 0
		.amdhsa_system_sgpr_workgroup_id_z 0
		.amdhsa_system_sgpr_workgroup_info 0
		.amdhsa_system_vgpr_workitem_id 0
		.amdhsa_next_free_vgpr 26
		.amdhsa_next_free_sgpr 35
		.amdhsa_reserve_vcc 1
		.amdhsa_reserve_flat_scratch 0
		.amdhsa_float_round_mode_32 0
		.amdhsa_float_round_mode_16_64 0
		.amdhsa_float_denorm_mode_32 3
		.amdhsa_float_denorm_mode_16_64 3
		.amdhsa_dx10_clamp 1
		.amdhsa_ieee_mode 1
		.amdhsa_fp16_overflow 0
		.amdhsa_exception_fp_ieee_invalid_op 0
		.amdhsa_exception_fp_denorm_src 0
		.amdhsa_exception_fp_ieee_div_zero 0
		.amdhsa_exception_fp_ieee_overflow 0
		.amdhsa_exception_fp_ieee_underflow 0
		.amdhsa_exception_fp_ieee_inexact 0
		.amdhsa_exception_int_div_zero 0
	.end_amdhsa_kernel
	.section	.text._ZN2at6native12_GLOBAL__N_123philox_multi_key_kernelIN3c104HalfEZZZZNS0_21_philox_uniform_cuda_ERNS_6TensorERKS5_ddENKUlvE_clEvENKUlvE1_clEvENKUlvE_clEvEUlmmE0_ZZZNS0_21_philox_uniform_cuda_ES6_S8_ddENKS9_clEvENKSA_clEvEUlT_E_EEvPSD_PKmllT0_T1_16OffsetCalculatorILi1EjLb0EE,"axG",@progbits,_ZN2at6native12_GLOBAL__N_123philox_multi_key_kernelIN3c104HalfEZZZZNS0_21_philox_uniform_cuda_ERNS_6TensorERKS5_ddENKUlvE_clEvENKUlvE1_clEvENKUlvE_clEvEUlmmE0_ZZZNS0_21_philox_uniform_cuda_ES6_S8_ddENKS9_clEvENKSA_clEvEUlT_E_EEvPSD_PKmllT0_T1_16OffsetCalculatorILi1EjLb0EE,comdat
.Lfunc_end5:
	.size	_ZN2at6native12_GLOBAL__N_123philox_multi_key_kernelIN3c104HalfEZZZZNS0_21_philox_uniform_cuda_ERNS_6TensorERKS5_ddENKUlvE_clEvENKUlvE1_clEvENKUlvE_clEvEUlmmE0_ZZZNS0_21_philox_uniform_cuda_ES6_S8_ddENKS9_clEvENKSA_clEvEUlT_E_EEvPSD_PKmllT0_T1_16OffsetCalculatorILi1EjLb0EE, .Lfunc_end5-_ZN2at6native12_GLOBAL__N_123philox_multi_key_kernelIN3c104HalfEZZZZNS0_21_philox_uniform_cuda_ERNS_6TensorERKS5_ddENKUlvE_clEvENKUlvE1_clEvENKUlvE_clEvEUlmmE0_ZZZNS0_21_philox_uniform_cuda_ES6_S8_ddENKS9_clEvENKSA_clEvEUlT_E_EEvPSD_PKmllT0_T1_16OffsetCalculatorILi1EjLb0EE
                                        ; -- End function
	.set _ZN2at6native12_GLOBAL__N_123philox_multi_key_kernelIN3c104HalfEZZZZNS0_21_philox_uniform_cuda_ERNS_6TensorERKS5_ddENKUlvE_clEvENKUlvE1_clEvENKUlvE_clEvEUlmmE0_ZZZNS0_21_philox_uniform_cuda_ES6_S8_ddENKS9_clEvENKSA_clEvEUlT_E_EEvPSD_PKmllT0_T1_16OffsetCalculatorILi1EjLb0EE.num_vgpr, 26
	.set _ZN2at6native12_GLOBAL__N_123philox_multi_key_kernelIN3c104HalfEZZZZNS0_21_philox_uniform_cuda_ERNS_6TensorERKS5_ddENKUlvE_clEvENKUlvE1_clEvENKUlvE_clEvEUlmmE0_ZZZNS0_21_philox_uniform_cuda_ES6_S8_ddENKS9_clEvENKSA_clEvEUlT_E_EEvPSD_PKmllT0_T1_16OffsetCalculatorILi1EjLb0EE.num_agpr, 0
	.set _ZN2at6native12_GLOBAL__N_123philox_multi_key_kernelIN3c104HalfEZZZZNS0_21_philox_uniform_cuda_ERNS_6TensorERKS5_ddENKUlvE_clEvENKUlvE1_clEvENKUlvE_clEvEUlmmE0_ZZZNS0_21_philox_uniform_cuda_ES6_S8_ddENKS9_clEvENKSA_clEvEUlT_E_EEvPSD_PKmllT0_T1_16OffsetCalculatorILi1EjLb0EE.numbered_sgpr, 35
	.set _ZN2at6native12_GLOBAL__N_123philox_multi_key_kernelIN3c104HalfEZZZZNS0_21_philox_uniform_cuda_ERNS_6TensorERKS5_ddENKUlvE_clEvENKUlvE1_clEvENKUlvE_clEvEUlmmE0_ZZZNS0_21_philox_uniform_cuda_ES6_S8_ddENKS9_clEvENKSA_clEvEUlT_E_EEvPSD_PKmllT0_T1_16OffsetCalculatorILi1EjLb0EE.num_named_barrier, 0
	.set _ZN2at6native12_GLOBAL__N_123philox_multi_key_kernelIN3c104HalfEZZZZNS0_21_philox_uniform_cuda_ERNS_6TensorERKS5_ddENKUlvE_clEvENKUlvE1_clEvENKUlvE_clEvEUlmmE0_ZZZNS0_21_philox_uniform_cuda_ES6_S8_ddENKS9_clEvENKSA_clEvEUlT_E_EEvPSD_PKmllT0_T1_16OffsetCalculatorILi1EjLb0EE.private_seg_size, 0
	.set _ZN2at6native12_GLOBAL__N_123philox_multi_key_kernelIN3c104HalfEZZZZNS0_21_philox_uniform_cuda_ERNS_6TensorERKS5_ddENKUlvE_clEvENKUlvE1_clEvENKUlvE_clEvEUlmmE0_ZZZNS0_21_philox_uniform_cuda_ES6_S8_ddENKS9_clEvENKSA_clEvEUlT_E_EEvPSD_PKmllT0_T1_16OffsetCalculatorILi1EjLb0EE.uses_vcc, 1
	.set _ZN2at6native12_GLOBAL__N_123philox_multi_key_kernelIN3c104HalfEZZZZNS0_21_philox_uniform_cuda_ERNS_6TensorERKS5_ddENKUlvE_clEvENKUlvE1_clEvENKUlvE_clEvEUlmmE0_ZZZNS0_21_philox_uniform_cuda_ES6_S8_ddENKS9_clEvENKSA_clEvEUlT_E_EEvPSD_PKmllT0_T1_16OffsetCalculatorILi1EjLb0EE.uses_flat_scratch, 0
	.set _ZN2at6native12_GLOBAL__N_123philox_multi_key_kernelIN3c104HalfEZZZZNS0_21_philox_uniform_cuda_ERNS_6TensorERKS5_ddENKUlvE_clEvENKUlvE1_clEvENKUlvE_clEvEUlmmE0_ZZZNS0_21_philox_uniform_cuda_ES6_S8_ddENKS9_clEvENKSA_clEvEUlT_E_EEvPSD_PKmllT0_T1_16OffsetCalculatorILi1EjLb0EE.has_dyn_sized_stack, 0
	.set _ZN2at6native12_GLOBAL__N_123philox_multi_key_kernelIN3c104HalfEZZZZNS0_21_philox_uniform_cuda_ERNS_6TensorERKS5_ddENKUlvE_clEvENKUlvE1_clEvENKUlvE_clEvEUlmmE0_ZZZNS0_21_philox_uniform_cuda_ES6_S8_ddENKS9_clEvENKSA_clEvEUlT_E_EEvPSD_PKmllT0_T1_16OffsetCalculatorILi1EjLb0EE.has_recursion, 0
	.set _ZN2at6native12_GLOBAL__N_123philox_multi_key_kernelIN3c104HalfEZZZZNS0_21_philox_uniform_cuda_ERNS_6TensorERKS5_ddENKUlvE_clEvENKUlvE1_clEvENKUlvE_clEvEUlmmE0_ZZZNS0_21_philox_uniform_cuda_ES6_S8_ddENKS9_clEvENKSA_clEvEUlT_E_EEvPSD_PKmllT0_T1_16OffsetCalculatorILi1EjLb0EE.has_indirect_call, 0
	.section	.AMDGPU.csdata,"",@progbits
; Kernel info:
; codeLenInByte = 2824
; TotalNumSgprs: 39
; NumVgprs: 26
; ScratchSize: 0
; MemoryBound: 0
; FloatMode: 240
; IeeeMode: 1
; LDSByteSize: 0 bytes/workgroup (compile time only)
; SGPRBlocks: 4
; VGPRBlocks: 6
; NumSGPRsForWavesPerEU: 39
; NumVGPRsForWavesPerEU: 26
; Occupancy: 9
; WaveLimiterHint : 1
; COMPUTE_PGM_RSRC2:SCRATCH_EN: 0
; COMPUTE_PGM_RSRC2:USER_SGPR: 6
; COMPUTE_PGM_RSRC2:TRAP_HANDLER: 0
; COMPUTE_PGM_RSRC2:TGID_X_EN: 1
; COMPUTE_PGM_RSRC2:TGID_Y_EN: 0
; COMPUTE_PGM_RSRC2:TGID_Z_EN: 0
; COMPUTE_PGM_RSRC2:TIDIG_COMP_CNT: 0
	.section	.text._ZN2at6native12_GLOBAL__N_124philox_single_key_kernelIN3c108BFloat16EZZZZNS0_21_philox_uniform_cuda_ERNS_6TensorERKS5_ddENKUlvE_clEvENKUlvE2_clEvENKUlvE_clEvEUlmmE0_ZZZNS0_21_philox_uniform_cuda_ES6_S8_ddENKS9_clEvENKSA_clEvEUlT_E_EEvPSD_PKmlT0_T1_,"axG",@progbits,_ZN2at6native12_GLOBAL__N_124philox_single_key_kernelIN3c108BFloat16EZZZZNS0_21_philox_uniform_cuda_ERNS_6TensorERKS5_ddENKUlvE_clEvENKUlvE2_clEvENKUlvE_clEvEUlmmE0_ZZZNS0_21_philox_uniform_cuda_ES6_S8_ddENKS9_clEvENKSA_clEvEUlT_E_EEvPSD_PKmlT0_T1_,comdat
	.globl	_ZN2at6native12_GLOBAL__N_124philox_single_key_kernelIN3c108BFloat16EZZZZNS0_21_philox_uniform_cuda_ERNS_6TensorERKS5_ddENKUlvE_clEvENKUlvE2_clEvENKUlvE_clEvEUlmmE0_ZZZNS0_21_philox_uniform_cuda_ES6_S8_ddENKS9_clEvENKSA_clEvEUlT_E_EEvPSD_PKmlT0_T1_ ; -- Begin function _ZN2at6native12_GLOBAL__N_124philox_single_key_kernelIN3c108BFloat16EZZZZNS0_21_philox_uniform_cuda_ERNS_6TensorERKS5_ddENKUlvE_clEvENKUlvE2_clEvENKUlvE_clEvEUlmmE0_ZZZNS0_21_philox_uniform_cuda_ES6_S8_ddENKS9_clEvENKSA_clEvEUlT_E_EEvPSD_PKmlT0_T1_
	.p2align	8
	.type	_ZN2at6native12_GLOBAL__N_124philox_single_key_kernelIN3c108BFloat16EZZZZNS0_21_philox_uniform_cuda_ERNS_6TensorERKS5_ddENKUlvE_clEvENKUlvE2_clEvENKUlvE_clEvEUlmmE0_ZZZNS0_21_philox_uniform_cuda_ES6_S8_ddENKS9_clEvENKSA_clEvEUlT_E_EEvPSD_PKmlT0_T1_,@function
_ZN2at6native12_GLOBAL__N_124philox_single_key_kernelIN3c108BFloat16EZZZZNS0_21_philox_uniform_cuda_ERNS_6TensorERKS5_ddENKUlvE_clEvENKUlvE2_clEvENKUlvE_clEvEUlmmE0_ZZZNS0_21_philox_uniform_cuda_ES6_S8_ddENKS9_clEvENKSA_clEvEUlT_E_EEvPSD_PKmlT0_T1_: ; @_ZN2at6native12_GLOBAL__N_124philox_single_key_kernelIN3c108BFloat16EZZZZNS0_21_philox_uniform_cuda_ERNS_6TensorERKS5_ddENKUlvE_clEvENKUlvE2_clEvENKUlvE_clEvEUlmmE0_ZZZNS0_21_philox_uniform_cuda_ES6_S8_ddENKS9_clEvENKSA_clEvEUlT_E_EEvPSD_PKmlT0_T1_
; %bb.0:
	v_mov_b32_e32 v3, v1
	v_mov_b32_e32 v1, 0
	global_load_dword v6, v1, s[6:7] offset:26
	s_load_dwordx2 s[12:13], s[6:7], 0x10
	s_load_dwordx4 s[0:3], s[6:7], 0x0
	s_load_dword s9, s[6:7], 0x2c
	v_mov_b32_e32 v4, s8
	s_waitcnt lgkmcnt(0)
	s_ashr_i32 s6, s13, 31
	s_lshr_b32 s6, s6, 30
	s_add_u32 s6, s12, s6
	s_addc_u32 s7, s13, 0
	s_and_b32 s9, s9, 0xffff
	v_mad_u64_u32 v[4:5], s[8:9], s9, v4, v[0:1]
	s_load_dwordx4 s[8:11], s[2:3], 0x0
	s_ashr_i64 s[2:3], s[6:7], 2
	v_cmp_gt_i64_e32 vcc, s[2:3], v[4:5]
	s_and_saveexec_b64 s[6:7], vcc
	s_cbranch_execz .LBB6_2
; %bb.1:
	s_waitcnt lgkmcnt(0)
	v_add_co_u32_e32 v8, vcc, s10, v4
	s_mov_b32 s14, 0xd2511f53
	v_mul_hi_u32 v9, v8, s14
	v_mov_b32_e32 v7, s11
	v_addc_co_u32_e32 v7, vcc, v5, v7, vcc
	v_mul_lo_u32 v8, v8, s14
	v_xor_b32_e32 v7, s8, v7
	v_xor_b32_e32 v9, s9, v9
	s_mov_b32 s18, 0xcd9e8d57
	v_mul_lo_u32 v11, v7, s14
	v_mul_hi_u32 v7, v7, s14
	v_mul_hi_u32 v10, v9, s18
	s_add_i32 s17, s9, 0xbb67ae85
	v_xor_b32_e32 v8, s17, v8
	s_add_i32 s16, s8, 0x9e3779b9
	v_mul_lo_u32 v9, v9, s18
	v_xor_b32_e32 v7, v8, v7
	v_xor_b32_e32 v10, s16, v10
	v_mul_hi_u32 v12, v7, s18
	v_mul_lo_u32 v8, v10, s14
	v_mul_hi_u32 v10, v10, s14
	s_add_i32 s16, s8, 0x3c6ef372
	s_add_i32 s17, s9, 0x76cf5d0a
	v_xor_b32_e32 v9, s16, v9
	v_xor_b32_e32 v9, v9, v12
	v_xor_b32_e32 v11, s17, v11
	v_mul_lo_u32 v7, v7, s18
	v_xor_b32_e32 v10, v11, v10
	v_mul_lo_u32 v11, v9, s14
	v_mul_hi_u32 v9, v9, s14
	v_mul_hi_u32 v12, v10, s18
	s_add_i32 s17, s9, 0x32370b8f
	s_add_i32 s16, s8, 0xdaa66d2b
	v_xor_b32_e32 v8, s17, v8
	v_mul_lo_u32 v10, v10, s18
	v_xor_b32_e32 v7, s16, v7
	v_xor_b32_e32 v8, v8, v9
	v_xor_b32_e32 v7, v7, v12
	v_mul_hi_u32 v12, v8, s18
	v_mul_lo_u32 v9, v7, s14
	v_mul_hi_u32 v7, v7, s14
	s_add_i32 s16, s8, 0x78dde6e4
	s_add_i32 s17, s9, 0xed9eba14
	v_xor_b32_e32 v10, s16, v10
	v_xor_b32_e32 v10, v10, v12
	v_xor_b32_e32 v11, s17, v11
	v_mul_lo_u32 v8, v8, s18
	v_xor_b32_e32 v7, v11, v7
	v_mul_lo_u32 v11, v10, s14
	v_mul_hi_u32 v10, v10, s14
	v_mul_hi_u32 v12, v7, s18
	s_add_i32 s17, s9, 0xa9066899
	s_add_i32 s16, s8, 0x1715609d
	v_xor_b32_e32 v9, s17, v9
	v_mul_lo_u32 v7, v7, s18
	v_xor_b32_e32 v8, s16, v8
	;; [unrolled: 20-line block ×3, first 2 shown]
	v_xor_b32_e32 v7, v10, v7
	v_xor_b32_e32 v9, v9, v12
	s_movk_i32 s19, 0x53
	v_mul_hi_u32 v12, v7, s18
	v_mul_lo_u32 v10, v9, s19
	v_mul_hi_u32 v9, v9, s14
	s_add_i32 s16, s8, 0xf1bbcdc8
	s_add_i32 s17, s9, 0xdb3d7428
	v_xor_b32_e32 v8, s16, v8
	v_xor_b32_e32 v8, v8, v12
	v_xor_b32_e32 v11, s17, v11
	s_movk_i32 s20, 0x57
	v_xor_b32_e32 v9, v11, v9
	v_mul_lo_u32 v11, v8, s19
	v_mul_hi_u32 v8, v8, s14
	v_mul_lo_u32 v7, v7, s20
	s_add_i32 s16, s9, 0xad
	v_mul_hi_u32 v12, v9, s18
	v_xor_b32_e32 v10, s16, v10
	s_waitcnt vmcnt(0)
	v_and_b32_e32 v1, 0xffff0000, v6
	s_add_i32 s15, s8, 0x81
	v_xor_b32_e32 v8, v10, v8
	v_lshlrev_b32_e32 v10, 16, v6
	v_xor_b32_e32 v7, s15, v7
	v_sub_f32_e32 v1, v1, v10
	v_xor_b32_e32 v7, v7, v12
	v_bfe_u32 v12, v1, 16, 1
	v_add_u32_e32 v12, v1, v12
	v_add_u32_e32 v12, 0x7fff, v12
	v_mul_lo_u32 v9, v9, s20
	v_and_b32_e32 v12, 0xffff0000, v12
	v_mov_b32_e32 v13, 0x7fc00000
	v_cmp_o_f32_e32 vcc, v1, v1
	v_cvt_f32_ubyte0_e32 v7, v7
	v_cndmask_b32_e32 v1, v13, v12, vcc
	v_mul_f32_e32 v7, 0x3b800000, v7
	v_fma_f32 v12, v1, v7, v10
	s_movk_i32 s14, 0x7fff
	v_bfe_u32 v7, v12, 16, 1
	v_add3_u32 v14, v12, v7, s14
	v_cvt_f32_ubyte0_e32 v7, v9
	v_mul_f32_e32 v7, 0x3b800000, v7
	v_fma_f32 v9, v1, v7, v10
	v_bfe_u32 v7, v9, 16, 1
	v_add3_u32 v7, v9, v7, s14
	v_and_b32_e32 v15, 0xffff0000, v7
	v_cvt_f32_ubyte0_e32 v7, v8
	v_mul_f32_e32 v7, 0x3b800000, v7
	v_fma_f32 v16, v1, v7, v10
	v_bfe_u32 v7, v16, 16, 1
	v_add3_u32 v17, v16, v7, s14
	v_cvt_f32_ubyte0_e32 v7, v11
	v_mul_f32_e32 v7, 0x3b800000, v7
	v_fmac_f32_e32 v10, v1, v7
	v_lshlrev_b64 v[7:8], 3, v[4:5]
	v_bfe_u32 v1, v10, 16, 1
	v_mov_b32_e32 v11, s1
	v_add_co_u32_e32 v7, vcc, s0, v7
	v_add3_u32 v1, v10, v1, s14
	v_addc_co_u32_e32 v8, vcc, v11, v8, vcc
	v_and_b32_e32 v1, 0xffff0000, v1
	v_cmp_o_f32_e32 vcc, v10, v10
	v_cndmask_b32_e32 v1, v13, v1, vcc
	v_cmp_o_f32_e32 vcc, v16, v16
	v_mov_b32_e32 v10, 0x7fc0
	v_cndmask_b32_sdwa v11, v10, v17, vcc dst_sel:DWORD dst_unused:UNUSED_PAD src0_sel:DWORD src1_sel:WORD_1
	v_cmp_o_f32_e32 vcc, v9, v9
	v_cndmask_b32_e32 v9, v13, v15, vcc
	v_cmp_o_f32_e32 vcc, v12, v12
	v_or_b32_e32 v1, v1, v11
	v_cndmask_b32_sdwa v11, v10, v14, vcc dst_sel:DWORD dst_unused:UNUSED_PAD src0_sel:DWORD src1_sel:WORD_1
	v_or3_b32 v10, v1, 0, 0
	v_or3_b32 v9, 0, v9, v11
	global_store_dwordx2 v[7:8], v[9:10], off
.LBB6_2:
	s_or_b64 exec, exec, s[6:7]
	v_cmp_eq_u64_e32 vcc, s[2:3], v[4:5]
	s_and_saveexec_b64 s[6:7], vcc
	s_cbranch_execz .LBB6_6
; %bb.3:
	s_load_dwordx2 s[6:7], s[4:5], 0x4
	s_lshl_b64 s[4:5], s[2:3], 2
	s_waitcnt lgkmcnt(0)
	s_lshr_b32 s6, s6, 16
	s_mul_i32 s6, s6, s7
	v_mul_lo_u32 v0, s6, v0
	s_add_u32 s2, s10, s2
	s_addc_u32 s6, s11, s3
	s_mul_hi_u32 s3, s2, 0xd2511f53
	s_mul_i32 s11, s2, 0xd2511f53
	s_xor_b64 s[2:3], s[2:3], s[8:9]
	s_xor_b32 s6, s6, s8
	v_mad_u32_u24 v0, v3, s7, v0
	s_add_i32 s2, s8, 0x9e3779b9
	s_add_i32 s7, s9, 0xbb67ae85
	s_mul_i32 s15, s3, 0xcd9e8d57
	s_mul_hi_u32 s3, s3, 0xcd9e8d57
	s_mul_i32 s14, s6, 0xd2511f53
	s_mul_hi_u32 s6, s6, 0xd2511f53
	s_xor_b32 s2, s2, s3
	s_xor_b32 s3, s11, s7
	s_xor_b32 s3, s3, s6
	s_add_i32 s6, s8, 0x3c6ef372
	s_add_i32 s7, s9, 0x76cf5d0a
	s_mul_i32 s16, s3, 0xcd9e8d57
	s_mul_hi_u32 s3, s3, 0xcd9e8d57
	s_xor_b32 s6, s15, s6
	s_mul_i32 s11, s2, 0xd2511f53
	s_mul_hi_u32 s2, s2, 0xd2511f53
	s_xor_b32 s3, s6, s3
	s_xor_b32 s6, s14, s7
	s_xor_b32 s2, s6, s2
	s_add_i32 s6, s8, 0xdaa66d2b
	s_add_i32 s7, s9, 0x32370b8f
	s_mul_i32 s15, s2, 0xcd9e8d57
	s_mul_hi_u32 s2, s2, 0xcd9e8d57
	s_xor_b32 s6, s16, s6
	;; [unrolled: 10-line block ×7, first 2 shown]
	s_add_i32 s10, s8, 0x8ff34781
	s_mul_i32 s8, s2, 0xd2511f53
	s_mul_hi_u32 s2, s2, 0xd2511f53
	s_xor_b32 s3, s6, s3
	s_xor_b32 s6, s14, s7
	;; [unrolled: 1-line block ×3, first 2 shown]
	s_add_i32 s6, s9, 0x96a522ad
	s_mul_i32 s7, s3, 0xd2511f53
	s_mul_hi_u32 s3, s3, 0xd2511f53
	s_mul_i32 s9, s2, 0xcd9e8d57
	s_mul_hi_u32 s2, s2, 0xcd9e8d57
	s_xor_b32 s10, s11, s10
	s_xor_b32 s6, s8, s6
	;; [unrolled: 1-line block ×4, first 2 shown]
	v_mov_b32_e32 v1, s2
	s_sub_u32 s2, s12, s4
	v_mov_b32_e32 v3, s3
	s_subb_u32 s3, s13, s5
	v_mov_b32_e32 v4, s7
	v_cmp_lt_i64_e64 s[6:7], s[2:3], 1
	v_add_lshl_u32 v0, v0, v2, 4
	v_mov_b32_e32 v2, s9
	s_and_b64 vcc, exec, s[6:7]
	ds_write_b128 v0, v[1:4]
	s_cbranch_vccnz .LBB6_6
; %bb.4:
	s_waitcnt vmcnt(0)
	v_and_b32_e32 v2, 0xffff0000, v6
	v_lshlrev_b32_e32 v1, 16, v6
	v_sub_f32_e32 v2, v2, v1
	v_bfe_u32 v3, v2, 16, 1
	v_add_u32_e32 v3, v2, v3
	v_add_u32_e32 v3, 0x7fff, v3
	s_lshl_b64 s[4:5], s[4:5], 1
	v_and_b32_e32 v3, 0xffff0000, v3
	v_mov_b32_e32 v4, 0x7fc00000
	v_cmp_o_f32_e32 vcc, v2, v2
	s_add_u32 s4, s0, s4
	s_movk_i32 s8, 0x7fff
	v_cndmask_b32_e32 v2, v4, v3, vcc
	s_addc_u32 s5, s1, s5
	s_mov_b64 s[6:7], 0
	v_mov_b32_e32 v3, 0x7fc0
	v_mov_b32_e32 v4, 0
.LBB6_5:                                ; =>This Inner Loop Header: Depth=1
	ds_read_b32 v7, v0
	s_add_u32 s6, s6, 1
	s_addc_u32 s7, s7, 0
	v_mov_b32_e32 v5, s6
	v_mov_b32_e32 v6, s7
	v_cmp_gt_i64_e32 vcc, s[2:3], v[5:6]
	s_waitcnt lgkmcnt(0)
	v_cvt_f32_ubyte0_e32 v5, v7
	v_mul_f32_e32 v5, 0x3b800000, v5
	v_fma_f32 v5, v2, v5, v1
	v_bfe_u32 v6, v5, 16, 1
	v_add3_u32 v6, v5, v6, s8
	v_lshrrev_b32_e32 v6, 16, v6
	v_cmp_o_f32_e64 s[0:1], v5, v5
	v_cndmask_b32_e64 v5, v3, v6, s[0:1]
	global_store_short v4, v5, s[4:5]
	s_add_u32 s4, s4, 2
	v_add_u32_e32 v0, 4, v0
	s_addc_u32 s5, s5, 0
	s_cbranch_vccnz .LBB6_5
.LBB6_6:
	s_endpgm
	.section	.rodata,"a",@progbits
	.p2align	6, 0x0
	.amdhsa_kernel _ZN2at6native12_GLOBAL__N_124philox_single_key_kernelIN3c108BFloat16EZZZZNS0_21_philox_uniform_cuda_ERNS_6TensorERKS5_ddENKUlvE_clEvENKUlvE2_clEvENKUlvE_clEvEUlmmE0_ZZZNS0_21_philox_uniform_cuda_ES6_S8_ddENKS9_clEvENKSA_clEvEUlT_E_EEvPSD_PKmlT0_T1_
		.amdhsa_group_segment_fixed_size 16384
		.amdhsa_private_segment_fixed_size 0
		.amdhsa_kernarg_size 288
		.amdhsa_user_sgpr_count 8
		.amdhsa_user_sgpr_private_segment_buffer 1
		.amdhsa_user_sgpr_dispatch_ptr 1
		.amdhsa_user_sgpr_queue_ptr 0
		.amdhsa_user_sgpr_kernarg_segment_ptr 1
		.amdhsa_user_sgpr_dispatch_id 0
		.amdhsa_user_sgpr_flat_scratch_init 0
		.amdhsa_user_sgpr_private_segment_size 0
		.amdhsa_uses_dynamic_stack 0
		.amdhsa_system_sgpr_private_segment_wavefront_offset 0
		.amdhsa_system_sgpr_workgroup_id_x 1
		.amdhsa_system_sgpr_workgroup_id_y 0
		.amdhsa_system_sgpr_workgroup_id_z 0
		.amdhsa_system_sgpr_workgroup_info 0
		.amdhsa_system_vgpr_workitem_id 2
		.amdhsa_next_free_vgpr 18
		.amdhsa_next_free_sgpr 21
		.amdhsa_reserve_vcc 1
		.amdhsa_reserve_flat_scratch 0
		.amdhsa_float_round_mode_32 0
		.amdhsa_float_round_mode_16_64 0
		.amdhsa_float_denorm_mode_32 3
		.amdhsa_float_denorm_mode_16_64 3
		.amdhsa_dx10_clamp 1
		.amdhsa_ieee_mode 1
		.amdhsa_fp16_overflow 0
		.amdhsa_exception_fp_ieee_invalid_op 0
		.amdhsa_exception_fp_denorm_src 0
		.amdhsa_exception_fp_ieee_div_zero 0
		.amdhsa_exception_fp_ieee_overflow 0
		.amdhsa_exception_fp_ieee_underflow 0
		.amdhsa_exception_fp_ieee_inexact 0
		.amdhsa_exception_int_div_zero 0
	.end_amdhsa_kernel
	.section	.text._ZN2at6native12_GLOBAL__N_124philox_single_key_kernelIN3c108BFloat16EZZZZNS0_21_philox_uniform_cuda_ERNS_6TensorERKS5_ddENKUlvE_clEvENKUlvE2_clEvENKUlvE_clEvEUlmmE0_ZZZNS0_21_philox_uniform_cuda_ES6_S8_ddENKS9_clEvENKSA_clEvEUlT_E_EEvPSD_PKmlT0_T1_,"axG",@progbits,_ZN2at6native12_GLOBAL__N_124philox_single_key_kernelIN3c108BFloat16EZZZZNS0_21_philox_uniform_cuda_ERNS_6TensorERKS5_ddENKUlvE_clEvENKUlvE2_clEvENKUlvE_clEvEUlmmE0_ZZZNS0_21_philox_uniform_cuda_ES6_S8_ddENKS9_clEvENKSA_clEvEUlT_E_EEvPSD_PKmlT0_T1_,comdat
.Lfunc_end6:
	.size	_ZN2at6native12_GLOBAL__N_124philox_single_key_kernelIN3c108BFloat16EZZZZNS0_21_philox_uniform_cuda_ERNS_6TensorERKS5_ddENKUlvE_clEvENKUlvE2_clEvENKUlvE_clEvEUlmmE0_ZZZNS0_21_philox_uniform_cuda_ES6_S8_ddENKS9_clEvENKSA_clEvEUlT_E_EEvPSD_PKmlT0_T1_, .Lfunc_end6-_ZN2at6native12_GLOBAL__N_124philox_single_key_kernelIN3c108BFloat16EZZZZNS0_21_philox_uniform_cuda_ERNS_6TensorERKS5_ddENKUlvE_clEvENKUlvE2_clEvENKUlvE_clEvEUlmmE0_ZZZNS0_21_philox_uniform_cuda_ES6_S8_ddENKS9_clEvENKSA_clEvEUlT_E_EEvPSD_PKmlT0_T1_
                                        ; -- End function
	.set _ZN2at6native12_GLOBAL__N_124philox_single_key_kernelIN3c108BFloat16EZZZZNS0_21_philox_uniform_cuda_ERNS_6TensorERKS5_ddENKUlvE_clEvENKUlvE2_clEvENKUlvE_clEvEUlmmE0_ZZZNS0_21_philox_uniform_cuda_ES6_S8_ddENKS9_clEvENKSA_clEvEUlT_E_EEvPSD_PKmlT0_T1_.num_vgpr, 18
	.set _ZN2at6native12_GLOBAL__N_124philox_single_key_kernelIN3c108BFloat16EZZZZNS0_21_philox_uniform_cuda_ERNS_6TensorERKS5_ddENKUlvE_clEvENKUlvE2_clEvENKUlvE_clEvEUlmmE0_ZZZNS0_21_philox_uniform_cuda_ES6_S8_ddENKS9_clEvENKSA_clEvEUlT_E_EEvPSD_PKmlT0_T1_.num_agpr, 0
	.set _ZN2at6native12_GLOBAL__N_124philox_single_key_kernelIN3c108BFloat16EZZZZNS0_21_philox_uniform_cuda_ERNS_6TensorERKS5_ddENKUlvE_clEvENKUlvE2_clEvENKUlvE_clEvEUlmmE0_ZZZNS0_21_philox_uniform_cuda_ES6_S8_ddENKS9_clEvENKSA_clEvEUlT_E_EEvPSD_PKmlT0_T1_.numbered_sgpr, 21
	.set _ZN2at6native12_GLOBAL__N_124philox_single_key_kernelIN3c108BFloat16EZZZZNS0_21_philox_uniform_cuda_ERNS_6TensorERKS5_ddENKUlvE_clEvENKUlvE2_clEvENKUlvE_clEvEUlmmE0_ZZZNS0_21_philox_uniform_cuda_ES6_S8_ddENKS9_clEvENKSA_clEvEUlT_E_EEvPSD_PKmlT0_T1_.num_named_barrier, 0
	.set _ZN2at6native12_GLOBAL__N_124philox_single_key_kernelIN3c108BFloat16EZZZZNS0_21_philox_uniform_cuda_ERNS_6TensorERKS5_ddENKUlvE_clEvENKUlvE2_clEvENKUlvE_clEvEUlmmE0_ZZZNS0_21_philox_uniform_cuda_ES6_S8_ddENKS9_clEvENKSA_clEvEUlT_E_EEvPSD_PKmlT0_T1_.private_seg_size, 0
	.set _ZN2at6native12_GLOBAL__N_124philox_single_key_kernelIN3c108BFloat16EZZZZNS0_21_philox_uniform_cuda_ERNS_6TensorERKS5_ddENKUlvE_clEvENKUlvE2_clEvENKUlvE_clEvEUlmmE0_ZZZNS0_21_philox_uniform_cuda_ES6_S8_ddENKS9_clEvENKSA_clEvEUlT_E_EEvPSD_PKmlT0_T1_.uses_vcc, 1
	.set _ZN2at6native12_GLOBAL__N_124philox_single_key_kernelIN3c108BFloat16EZZZZNS0_21_philox_uniform_cuda_ERNS_6TensorERKS5_ddENKUlvE_clEvENKUlvE2_clEvENKUlvE_clEvEUlmmE0_ZZZNS0_21_philox_uniform_cuda_ES6_S8_ddENKS9_clEvENKSA_clEvEUlT_E_EEvPSD_PKmlT0_T1_.uses_flat_scratch, 0
	.set _ZN2at6native12_GLOBAL__N_124philox_single_key_kernelIN3c108BFloat16EZZZZNS0_21_philox_uniform_cuda_ERNS_6TensorERKS5_ddENKUlvE_clEvENKUlvE2_clEvENKUlvE_clEvEUlmmE0_ZZZNS0_21_philox_uniform_cuda_ES6_S8_ddENKS9_clEvENKSA_clEvEUlT_E_EEvPSD_PKmlT0_T1_.has_dyn_sized_stack, 0
	.set _ZN2at6native12_GLOBAL__N_124philox_single_key_kernelIN3c108BFloat16EZZZZNS0_21_philox_uniform_cuda_ERNS_6TensorERKS5_ddENKUlvE_clEvENKUlvE2_clEvENKUlvE_clEvEUlmmE0_ZZZNS0_21_philox_uniform_cuda_ES6_S8_ddENKS9_clEvENKSA_clEvEUlT_E_EEvPSD_PKmlT0_T1_.has_recursion, 0
	.set _ZN2at6native12_GLOBAL__N_124philox_single_key_kernelIN3c108BFloat16EZZZZNS0_21_philox_uniform_cuda_ERNS_6TensorERKS5_ddENKUlvE_clEvENKUlvE2_clEvENKUlvE_clEvEUlmmE0_ZZZNS0_21_philox_uniform_cuda_ES6_S8_ddENKS9_clEvENKSA_clEvEUlT_E_EEvPSD_PKmlT0_T1_.has_indirect_call, 0
	.section	.AMDGPU.csdata,"",@progbits
; Kernel info:
; codeLenInByte = 1988
; TotalNumSgprs: 25
; NumVgprs: 18
; ScratchSize: 0
; MemoryBound: 0
; FloatMode: 240
; IeeeMode: 1
; LDSByteSize: 16384 bytes/workgroup (compile time only)
; SGPRBlocks: 3
; VGPRBlocks: 4
; NumSGPRsForWavesPerEU: 25
; NumVGPRsForWavesPerEU: 18
; Occupancy: 8
; WaveLimiterHint : 0
; COMPUTE_PGM_RSRC2:SCRATCH_EN: 0
; COMPUTE_PGM_RSRC2:USER_SGPR: 8
; COMPUTE_PGM_RSRC2:TRAP_HANDLER: 0
; COMPUTE_PGM_RSRC2:TGID_X_EN: 1
; COMPUTE_PGM_RSRC2:TGID_Y_EN: 0
; COMPUTE_PGM_RSRC2:TGID_Z_EN: 0
; COMPUTE_PGM_RSRC2:TIDIG_COMP_CNT: 2
	.section	.text._ZN2at6native12_GLOBAL__N_123philox_multi_key_kernelIN3c108BFloat16EZZZZNS0_21_philox_uniform_cuda_ERNS_6TensorERKS5_ddENKUlvE_clEvENKUlvE2_clEvENKUlvE_clEvEUlmmE0_ZZZNS0_21_philox_uniform_cuda_ES6_S8_ddENKS9_clEvENKSA_clEvEUlT_E_EEvPSD_PKmllT0_T1_16OffsetCalculatorILi1EjLb0EE,"axG",@progbits,_ZN2at6native12_GLOBAL__N_123philox_multi_key_kernelIN3c108BFloat16EZZZZNS0_21_philox_uniform_cuda_ERNS_6TensorERKS5_ddENKUlvE_clEvENKUlvE2_clEvENKUlvE_clEvEUlmmE0_ZZZNS0_21_philox_uniform_cuda_ES6_S8_ddENKS9_clEvENKSA_clEvEUlT_E_EEvPSD_PKmllT0_T1_16OffsetCalculatorILi1EjLb0EE,comdat
	.globl	_ZN2at6native12_GLOBAL__N_123philox_multi_key_kernelIN3c108BFloat16EZZZZNS0_21_philox_uniform_cuda_ERNS_6TensorERKS5_ddENKUlvE_clEvENKUlvE2_clEvENKUlvE_clEvEUlmmE0_ZZZNS0_21_philox_uniform_cuda_ES6_S8_ddENKS9_clEvENKSA_clEvEUlT_E_EEvPSD_PKmllT0_T1_16OffsetCalculatorILi1EjLb0EE ; -- Begin function _ZN2at6native12_GLOBAL__N_123philox_multi_key_kernelIN3c108BFloat16EZZZZNS0_21_philox_uniform_cuda_ERNS_6TensorERKS5_ddENKUlvE_clEvENKUlvE2_clEvENKUlvE_clEvEUlmmE0_ZZZNS0_21_philox_uniform_cuda_ES6_S8_ddENKS9_clEvENKSA_clEvEUlT_E_EEvPSD_PKmllT0_T1_16OffsetCalculatorILi1EjLb0EE
	.p2align	8
	.type	_ZN2at6native12_GLOBAL__N_123philox_multi_key_kernelIN3c108BFloat16EZZZZNS0_21_philox_uniform_cuda_ERNS_6TensorERKS5_ddENKUlvE_clEvENKUlvE2_clEvENKUlvE_clEvEUlmmE0_ZZZNS0_21_philox_uniform_cuda_ES6_S8_ddENKS9_clEvENKSA_clEvEUlT_E_EEvPSD_PKmllT0_T1_16OffsetCalculatorILi1EjLb0EE,@function
_ZN2at6native12_GLOBAL__N_123philox_multi_key_kernelIN3c108BFloat16EZZZZNS0_21_philox_uniform_cuda_ERNS_6TensorERKS5_ddENKUlvE_clEvENKUlvE2_clEvENKUlvE_clEvEUlmmE0_ZZZNS0_21_philox_uniform_cuda_ES6_S8_ddENKS9_clEvENKSA_clEvEUlT_E_EEvPSD_PKmllT0_T1_16OffsetCalculatorILi1EjLb0EE: ; @_ZN2at6native12_GLOBAL__N_123philox_multi_key_kernelIN3c108BFloat16EZZZZNS0_21_philox_uniform_cuda_ERNS_6TensorERKS5_ddENKUlvE_clEvENKUlvE2_clEvENKUlvE_clEvEUlmmE0_ZZZNS0_21_philox_uniform_cuda_ES6_S8_ddENKS9_clEvENKSA_clEvEUlT_E_EEvPSD_PKmllT0_T1_16OffsetCalculatorILi1EjLb0EE
; %bb.0:
	s_load_dwordx4 s[0:3], s[4:5], 0x10
	s_load_dword s7, s[4:5], 0x13c
	v_mov_b32_e32 v4, 0
	v_mov_b32_e32 v1, v4
	;; [unrolled: 1-line block ×3, first 2 shown]
	s_waitcnt lgkmcnt(0)
	s_add_u32 s8, s2, 3
	s_addc_u32 s9, s3, 0
	s_ashr_i32 s10, s9, 31
	s_lshr_b32 s10, s10, 30
	s_add_u32 s8, s8, s10
	s_addc_u32 s9, s9, 0
	s_and_b32 s7, s7, 0xffff
	s_ashr_i64 s[24:25], s[8:9], 2
	v_mad_u64_u32 v[2:3], s[6:7], s7, v2, v[0:1]
	s_mul_i32 s1, s24, s1
	s_mul_hi_u32 s8, s24, s0
	s_add_i32 s1, s8, s1
	s_mul_i32 s6, s25, s0
	s_add_i32 s1, s1, s6
	s_mul_i32 s0, s24, s0
	v_cmp_gt_i64_e32 vcc, s[0:1], v[2:3]
	s_and_saveexec_b64 s[0:1], vcc
	s_cbranch_execz .LBB7_28
; %bb.1:
	global_load_dword v8, v4, s[4:5] offset:34
	v_or_b32_e32 v5, s25, v3
	v_cmp_ne_u64_e32 vcc, 0, v[4:5]
                                        ; implicit-def: $vgpr0_vgpr1
	s_and_saveexec_b64 s[0:1], vcc
	s_xor_b64 s[6:7], exec, s[0:1]
	s_cbranch_execz .LBB7_3
; %bb.2:
	s_ashr_i32 s8, s25, 31
	s_add_u32 s0, s24, s8
	s_mov_b32 s9, s8
	s_addc_u32 s1, s25, s8
	s_xor_b64 s[10:11], s[0:1], s[8:9]
	v_cvt_f32_u32_e32 v0, s10
	v_cvt_f32_u32_e32 v1, s11
	s_sub_u32 s9, 0, s10
	s_subb_u32 s12, 0, s11
	v_ashrrev_i32_e32 v6, 31, v3
	v_madmk_f32 v0, v1, 0x4f800000, v0
	v_rcp_f32_e32 v0, v0
	v_mul_f32_e32 v0, 0x5f7ffffc, v0
	v_mul_f32_e32 v1, 0x2f800000, v0
	v_trunc_f32_e32 v1, v1
	v_madmk_f32 v0, v1, 0xcf800000, v0
	v_cvt_u32_f32_e32 v1, v1
	v_cvt_u32_f32_e32 v0, v0
	v_readfirstlane_b32 s13, v1
	v_readfirstlane_b32 s0, v0
	s_mul_i32 s1, s9, s13
	s_mul_hi_u32 s15, s9, s0
	s_mul_i32 s14, s12, s0
	s_add_i32 s1, s15, s1
	s_add_i32 s1, s1, s14
	s_mul_i32 s16, s9, s0
	s_mul_i32 s15, s0, s1
	s_mul_hi_u32 s17, s0, s16
	s_mul_hi_u32 s14, s0, s1
	s_add_u32 s15, s17, s15
	s_addc_u32 s14, 0, s14
	s_mul_hi_u32 s18, s13, s16
	s_mul_i32 s16, s13, s16
	s_add_u32 s15, s15, s16
	s_mul_hi_u32 s17, s13, s1
	s_addc_u32 s14, s14, s18
	s_addc_u32 s15, s17, 0
	s_mul_i32 s1, s13, s1
	s_add_u32 s1, s14, s1
	s_addc_u32 s14, 0, s15
	s_add_u32 s15, s0, s1
	s_cselect_b64 s[0:1], -1, 0
	s_cmp_lg_u64 s[0:1], 0
	s_addc_u32 s13, s13, s14
	s_mul_i32 s0, s9, s13
	s_mul_hi_u32 s1, s9, s15
	s_add_i32 s0, s1, s0
	s_mul_i32 s12, s12, s15
	s_add_i32 s0, s0, s12
	s_mul_i32 s9, s9, s15
	s_mul_hi_u32 s12, s13, s9
	s_mul_i32 s14, s13, s9
	s_mul_i32 s17, s15, s0
	s_mul_hi_u32 s9, s15, s9
	s_mul_hi_u32 s16, s15, s0
	s_add_u32 s9, s9, s17
	s_addc_u32 s16, 0, s16
	s_add_u32 s9, s9, s14
	s_mul_hi_u32 s1, s13, s0
	s_addc_u32 s9, s16, s12
	s_addc_u32 s1, s1, 0
	s_mul_i32 s0, s13, s0
	s_add_u32 s0, s9, s0
	s_addc_u32 s9, 0, s1
	s_add_u32 s12, s15, s0
	s_cselect_b64 s[0:1], -1, 0
	s_cmp_lg_u64 s[0:1], 0
	v_add_co_u32_e32 v0, vcc, v2, v6
	s_addc_u32 s9, s13, s9
	v_xor_b32_e32 v7, v0, v6
	v_mad_u64_u32 v[0:1], s[0:1], v7, s9, 0
	v_mul_hi_u32 v5, v7, s12
	v_addc_co_u32_e32 v4, vcc, v3, v6, vcc
	v_xor_b32_e32 v9, v4, v6
	v_add_co_u32_e32 v10, vcc, v5, v0
	v_addc_co_u32_e32 v11, vcc, 0, v1, vcc
	v_mad_u64_u32 v[0:1], s[0:1], v9, s12, 0
	v_mad_u64_u32 v[4:5], s[0:1], v9, s9, 0
	v_add_co_u32_e32 v0, vcc, v10, v0
	v_addc_co_u32_e32 v0, vcc, v11, v1, vcc
	v_addc_co_u32_e32 v1, vcc, 0, v5, vcc
	v_add_co_u32_e32 v4, vcc, v0, v4
	v_addc_co_u32_e32 v5, vcc, 0, v1, vcc
	v_mul_lo_u32 v10, s11, v4
	v_mul_lo_u32 v11, s10, v5
	v_mad_u64_u32 v[0:1], s[0:1], s10, v4, 0
	v_add3_u32 v1, v1, v11, v10
	v_sub_u32_e32 v10, v9, v1
	v_mov_b32_e32 v11, s11
	v_sub_co_u32_e32 v0, vcc, v7, v0
	v_subb_co_u32_e64 v7, s[0:1], v10, v11, vcc
	v_subrev_co_u32_e64 v10, s[0:1], s10, v0
	v_subbrev_co_u32_e64 v7, s[0:1], 0, v7, s[0:1]
	v_cmp_le_u32_e64 s[0:1], s11, v7
	v_cndmask_b32_e64 v11, 0, -1, s[0:1]
	v_cmp_le_u32_e64 s[0:1], s10, v10
	v_cndmask_b32_e64 v10, 0, -1, s[0:1]
	v_cmp_eq_u32_e64 s[0:1], s11, v7
	v_cndmask_b32_e64 v7, v11, v10, s[0:1]
	v_add_co_u32_e64 v10, s[0:1], 2, v4
	v_subb_co_u32_e32 v1, vcc, v9, v1, vcc
	v_addc_co_u32_e64 v11, s[0:1], 0, v5, s[0:1]
	v_cmp_le_u32_e32 vcc, s11, v1
	v_add_co_u32_e64 v12, s[0:1], 1, v4
	v_cndmask_b32_e64 v9, 0, -1, vcc
	v_cmp_le_u32_e32 vcc, s10, v0
	v_addc_co_u32_e64 v13, s[0:1], 0, v5, s[0:1]
	v_cndmask_b32_e64 v0, 0, -1, vcc
	v_cmp_eq_u32_e32 vcc, s11, v1
	v_cmp_ne_u32_e64 s[0:1], 0, v7
	v_cndmask_b32_e32 v0, v9, v0, vcc
	v_cndmask_b32_e64 v7, v13, v11, s[0:1]
	v_cmp_ne_u32_e32 vcc, 0, v0
	v_cndmask_b32_e64 v1, v12, v10, s[0:1]
	v_cndmask_b32_e32 v0, v5, v7, vcc
	v_cndmask_b32_e32 v1, v4, v1, vcc
	v_xor_b32_e32 v4, s8, v6
	v_xor_b32_e32 v5, v0, v4
	;; [unrolled: 1-line block ×3, first 2 shown]
	v_sub_co_u32_e32 v0, vcc, v0, v4
	v_subb_co_u32_e32 v1, vcc, v5, v4, vcc
.LBB7_3:
	s_andn2_saveexec_b64 s[0:1], s[6:7]
	s_cbranch_execz .LBB7_5
; %bb.4:
	v_cvt_f32_u32_e32 v0, s24
	s_sub_i32 s6, 0, s24
	v_rcp_iflag_f32_e32 v0, v0
	v_mul_f32_e32 v0, 0x4f7ffffe, v0
	v_cvt_u32_f32_e32 v0, v0
	v_mul_lo_u32 v1, s6, v0
	v_mul_hi_u32 v1, v0, v1
	v_add_u32_e32 v0, v0, v1
	v_mul_hi_u32 v0, v2, v0
	v_mul_lo_u32 v1, v0, s24
	v_add_u32_e32 v4, 1, v0
	v_sub_u32_e32 v1, v2, v1
	v_subrev_u32_e32 v5, s24, v1
	v_cmp_le_u32_e32 vcc, s24, v1
	v_cndmask_b32_e32 v1, v1, v5, vcc
	v_cndmask_b32_e32 v0, v0, v4, vcc
	v_add_u32_e32 v4, 1, v0
	v_cmp_le_u32_e32 vcc, s24, v1
	v_cndmask_b32_e32 v0, v0, v4, vcc
	v_mov_b32_e32 v1, 0
.LBB7_5:
	s_or_b64 exec, exec, s[0:1]
	s_load_dword s30, s[4:5], 0x28
	s_load_dwordx2 s[6:7], s[4:5], 0x8
	s_add_u32 s26, s4, 40
	s_addc_u32 s27, s5, 0
	s_waitcnt lgkmcnt(0)
	s_add_i32 s0, s30, -1
	s_cmp_lt_u32 s0, 2
	s_cbranch_scc1 .LBB7_11
; %bb.6:
	s_cmp_lg_u32 s30, 0
	s_mov_b32 s31, 0
	s_cbranch_scc0 .LBB7_12
; %bb.7:
	s_min_u32 s33, s0, 15
	s_add_i32 s33, s33, 1
	s_cmp_eq_u32 s0, 2
	s_cbranch_scc1 .LBB7_13
; %bb.8:
	s_and_b32 s31, s33, 28
	s_add_u32 s0, s26, 0xc4
	s_addc_u32 s1, s27, 0
	s_mov_b32 s34, 0
	v_mov_b32_e32 v4, 0
	s_mov_b64 s[28:29], s[26:27]
	v_mov_b32_e32 v5, v0
.LBB7_9:                                ; =>This Inner Loop Header: Depth=1
	s_load_dwordx8 s[8:15], s[28:29], 0x4
	s_load_dwordx4 s[16:19], s[28:29], 0x24
	s_load_dwordx4 s[20:23], s[0:1], 0x0
	s_add_u32 s28, s28, 48
	s_addc_u32 s29, s29, 0
	s_waitcnt lgkmcnt(0)
	v_mul_hi_u32 v6, s9, v5
	s_add_i32 s34, s34, 4
	s_add_u32 s0, s0, 16
	s_addc_u32 s1, s1, 0
	v_add_u32_e32 v6, v5, v6
	v_lshrrev_b32_e32 v6, s10, v6
	v_mul_lo_u32 v7, v6, s8
	v_mul_hi_u32 v9, s12, v6
	s_cmp_lg_u32 s31, s34
	v_sub_u32_e32 v5, v5, v7
	v_add_u32_e32 v7, v6, v9
	v_lshrrev_b32_e32 v7, s13, v7
	v_mul_lo_u32 v9, v5, s20
	v_mul_hi_u32 v5, s15, v7
	v_mul_lo_u32 v11, v7, s11
	v_add_u32_e32 v5, v7, v5
	v_lshrrev_b32_e32 v10, s16, v5
	v_mul_hi_u32 v5, s18, v10
	v_sub_u32_e32 v6, v6, v11
	v_mul_lo_u32 v11, v10, s14
	v_mul_lo_u32 v6, v6, s21
	v_add_u32_e32 v5, v10, v5
	v_lshrrev_b32_e32 v5, s19, v5
	v_mul_lo_u32 v12, v5, s17
	v_sub_u32_e32 v7, v7, v11
	v_mul_lo_u32 v7, v7, s22
	v_add3_u32 v4, v9, v4, v6
	v_sub_u32_e32 v10, v10, v12
	v_mul_lo_u32 v10, v10, s23
	v_add3_u32 v4, v7, v4, v10
	s_cbranch_scc1 .LBB7_9
; %bb.10:
	s_and_b32 s10, s33, 3
	s_cmp_eq_u32 s10, 0
	s_cbranch_scc0 .LBB7_14
	s_branch .LBB7_16
.LBB7_11:
                                        ; implicit-def: $vgpr4
	s_load_dwordx2 s[0:1], s[4:5], 0x0
	s_branch .LBB7_17
.LBB7_12:
	v_mov_b32_e32 v4, 0
	s_branch .LBB7_16
.LBB7_13:
	v_mov_b32_e32 v4, 0
	v_mov_b32_e32 v5, v0
	s_and_b32 s10, s33, 3
	s_cmp_eq_u32 s10, 0
	s_cbranch_scc1 .LBB7_16
.LBB7_14:
	s_lshl_b32 s0, s31, 2
	s_add_u32 s0, s26, s0
	s_addc_u32 s1, s27, 0
	s_add_u32 s0, s0, 0xc4
	s_addc_u32 s1, s1, 0
	s_mul_i32 s8, s31, 12
	s_add_u32 s8, s26, s8
	s_addc_u32 s9, s27, 0
.LBB7_15:                               ; =>This Inner Loop Header: Depth=1
	s_load_dwordx2 s[12:13], s[8:9], 0x4
	s_load_dword s11, s[8:9], 0xc
	s_add_u32 s8, s8, 12
	s_addc_u32 s9, s9, 0
	s_waitcnt lgkmcnt(0)
	v_mul_hi_u32 v6, s13, v5
	s_load_dword s13, s[0:1], 0x0
	s_add_u32 s0, s0, 4
	s_addc_u32 s1, s1, 0
	v_add_u32_e32 v6, v5, v6
	v_lshrrev_b32_e32 v6, s11, v6
	v_mul_lo_u32 v7, v6, s12
	s_add_i32 s10, s10, -1
	s_cmp_lg_u32 s10, 0
	v_sub_u32_e32 v5, v5, v7
	s_waitcnt lgkmcnt(0)
	v_mad_u64_u32 v[4:5], s[12:13], v5, s13, v[4:5]
	v_mov_b32_e32 v5, v6
	s_cbranch_scc1 .LBB7_15
.LBB7_16:
	s_load_dwordx2 s[0:1], s[4:5], 0x0
	s_cbranch_execnz .LBB7_19
.LBB7_17:
	s_load_dwordx4 s[8:11], s[26:27], 0x4
	s_load_dword s4, s[26:27], 0xc4
	s_cmp_lt_u32 s30, 2
	s_waitcnt lgkmcnt(0)
	v_mul_hi_u32 v4, v0, s9
	v_add_u32_e32 v4, v4, v0
	v_lshrrev_b32_e32 v5, s10, v4
	v_mul_lo_u32 v4, v5, s8
	v_sub_u32_e32 v4, v0, v4
	v_mul_lo_u32 v4, v4, s4
	s_cbranch_scc1 .LBB7_19
; %bb.18:
	s_load_dwordx4 s[8:11], s[26:27], 0x10
	s_load_dword s4, s[26:27], 0xc8
	s_waitcnt lgkmcnt(0)
	v_mul_hi_u32 v6, s9, v5
	v_add_u32_e32 v6, v5, v6
	v_lshrrev_b32_e32 v6, s10, v6
	v_mul_lo_u32 v6, v6, s8
	v_sub_u32_e32 v5, v5, v6
	v_mad_u64_u32 v[4:5], s[4:5], v5, s4, v[4:5]
.LBB7_19:
	v_mov_b32_e32 v5, 0
	v_lshlrev_b64 v[6:7], 3, v[4:5]
	v_add_u32_e32 v4, 1, v4
	v_mov_b32_e32 v9, s7
	v_add_co_u32_e32 v6, vcc, s6, v6
	v_lshlrev_b64 v[4:5], 3, v[4:5]
	v_addc_co_u32_e32 v7, vcc, v9, v7, vcc
	v_add_co_u32_e32 v4, vcc, s6, v4
	v_addc_co_u32_e32 v5, vcc, v9, v5, vcc
	global_load_dwordx2 v[6:7], v[6:7], off
	v_mul_lo_u32 v9, v1, s24
	global_load_dwordx2 v[12:13], v[4:5], off
	v_mul_lo_u32 v10, v0, s25
	v_mad_u64_u32 v[4:5], s[4:5], v0, s24, 0
	s_mov_b32 s4, 0xd2511f53
	s_mov_b32 s5, 0xcd9e8d57
	v_add3_u32 v5, v5, v10, v9
	v_sub_co_u32_e32 v2, vcc, v2, v4
	v_subb_co_u32_e32 v3, vcc, v3, v5, vcc
	s_and_b32 s6, s2, 3
	s_mov_b32 s7, 0
	s_cmp_lg_u64 s[6:7], 0
	s_cselect_b64 s[6:7], -1, 0
	s_ashr_i32 s8, s3, 31
	s_lshr_b32 s8, s8, 30
	s_add_u32 s8, s2, s8
	s_addc_u32 s9, s3, 0
	s_ashr_i64 s[8:9], s[8:9], 2
	s_waitcnt vmcnt(1)
	v_add_u32_e32 v19, 0xbb67ae85, v7
	v_add_u32_e32 v21, 0x76cf5d0a, v7
	s_waitcnt vmcnt(0)
	v_add_co_u32_e32 v23, vcc, v12, v2
	v_mul_hi_u32 v15, v23, s4
	v_mul_lo_u32 v23, v23, s4
	v_addc_co_u32_e32 v12, vcc, v13, v3, vcc
	v_xor_b32_e32 v24, v12, v6
	v_xor_b32_e32 v19, v23, v19
	v_mul_hi_u32 v23, v24, s4
	v_xor_b32_e32 v25, v15, v7
	v_add_u32_e32 v18, 0x9e3779b9, v6
	v_add_u32_e32 v20, 0x3c6ef372, v6
	v_xor_b32_e32 v19, v19, v23
	v_mul_lo_u32 v23, v24, s4
	v_add_u32_e32 v22, 0xdaa66d2b, v6
	v_add_u32_e32 v17, 0x32370b8f, v7
	;; [unrolled: 1-line block ×3, first 2 shown]
	v_xor_b32_e32 v21, v23, v21
	v_mul_hi_u32 v23, v25, s5
	v_add_u32_e32 v10, 0x78dde6e4, v6
	v_add_u32_e32 v11, 0x1715609d, v6
	;; [unrolled: 1-line block ×3, first 2 shown]
	v_xor_b32_e32 v18, v18, v23
	v_mul_lo_u32 v23, v25, s5
	v_add_u32_e32 v13, 0x646e171e, v7
	v_add_u32_e32 v9, 0xb54cda56, v6
	;; [unrolled: 1-line block ×3, first 2 shown]
	v_xor_b32_e32 v20, v23, v20
	v_mul_hi_u32 v23, v19, s5
	v_mul_lo_u32 v19, v19, s5
	v_add_u32_e32 v14, 0x5384540f, v6
	v_add_u32_e32 v4, 0x8ff34781, v6
	v_xor_b32_e32 v20, v20, v23
	v_xor_b32_e32 v19, v19, v22
	v_mul_hi_u32 v22, v18, s4
	v_mul_lo_u32 v18, v18, s4
	v_add_u32_e32 v6, 0xf1bbcdc8, v6
	v_add_u32_e32 v15, 0xdb3d7428, v7
	v_xor_b32_e32 v21, v21, v22
	v_mul_hi_u32 v22, v20, s4
	v_xor_b32_e32 v17, v18, v17
	v_add_u32_e32 v7, 0x96a522ad, v7
	v_cmp_le_i64_e32 vcc, s[8:9], v[2:3]
	v_xor_b32_e32 v17, v17, v22
	v_mul_lo_u32 v22, v1, s2
	v_mul_lo_u32 v1, v20, s4
	;; [unrolled: 1-line block ×3, first 2 shown]
	v_and_b32_e32 v23, 0xffff0000, v8
	v_mul_lo_u32 v18, v0, s3
	v_xor_b32_e32 v1, v1, v16
	v_mul_hi_u32 v16, v21, s5
	v_xor_b32_e32 v10, v20, v10
	v_xor_b32_e32 v16, v19, v16
	v_mul_hi_u32 v19, v17, s5
	v_mul_lo_u32 v17, v17, s5
	v_xor_b32_e32 v10, v10, v19
	v_xor_b32_e32 v11, v17, v11
	v_mul_hi_u32 v17, v16, s4
	v_mul_lo_u32 v16, v16, s4
	v_mul_hi_u32 v19, v10, s4
	v_mul_lo_u32 v10, v10, s4
	v_xor_b32_e32 v1, v1, v17
	v_xor_b32_e32 v5, v16, v5
	;; [unrolled: 1-line block ×4, first 2 shown]
	v_mul_hi_u32 v13, v1, s5
	v_mul_lo_u32 v1, v1, s5
	v_mul_hi_u32 v16, v5, s5
	v_mul_lo_u32 v5, v5, s5
	v_xor_b32_e32 v11, v11, v13
	v_xor_b32_e32 v1, v1, v9
	v_mul_hi_u32 v9, v11, s4
	v_xor_b32_e32 v1, v1, v16
	v_mul_lo_u32 v11, v11, s4
	v_mul_hi_u32 v13, v1, s4
	v_xor_b32_e32 v9, v10, v9
	v_xor_b32_e32 v5, v5, v14
	;; [unrolled: 1-line block ×3, first 2 shown]
	v_mul_hi_u32 v11, v9, s5
	v_xor_b32_e32 v10, v10, v13
	v_mul_lo_u32 v9, v9, s5
	v_mul_hi_u32 v12, v10, s5
	v_mul_lo_u32 v10, v10, s5
	v_mul_lo_u32 v1, v1, s4
	v_xor_b32_e32 v5, v5, v11
	v_xor_b32_e32 v6, v9, v6
	v_mul_hi_u32 v9, v5, s4
	v_xor_b32_e32 v6, v6, v12
	v_mul_lo_u32 v5, v5, s4
	v_xor_b32_e32 v10, v10, v4
	v_mul_hi_u32 v4, v6, s4
	v_xor_b32_e32 v1, v1, v15
	v_xor_b32_e32 v9, v1, v9
	v_lshlrev_b64 v[1:2], 2, v[2:3]
	v_xor_b32_e32 v5, v5, v7
	v_xor_b32_e32 v7, v5, v4
	v_mad_u64_u32 v[3:4], s[8:9], v0, s2, v[1:2]
	v_lshlrev_b32_e32 v0, 16, v8
	v_mul_hi_u32 v11, v9, s5
	v_mul_lo_u32 v5, v6, s4
	v_sub_f32_e32 v6, v23, v0
	v_bfe_u32 v8, v6, 16, 1
	v_mul_lo_u32 v9, v9, s5
	v_add_u32_e32 v8, v6, v8
	v_add_u32_e32 v8, 0x7fff, v8
	v_xor_b32_e32 v10, v10, v11
	s_or_b64 s[4:5], s[6:7], vcc
	v_and_b32_e32 v8, 0xffff0000, v8
	v_mov_b32_e32 v11, 0x7fc00000
	v_cmp_o_f32_e32 vcc, v6, v6
	v_add3_u32 v4, v22, v4, v18
	v_cndmask_b32_e32 v6, v11, v8, vcc
	s_and_saveexec_b64 s[6:7], s[4:5]
	s_xor_b64 s[4:5], exec, s[6:7]
	s_cbranch_execz .LBB7_26
; %bb.20:
	v_cmp_gt_i64_e32 vcc, s[2:3], v[1:2]
	s_and_saveexec_b64 s[6:7], vcc
	s_cbranch_execz .LBB7_25
; %bb.21:
	v_lshlrev_b64 v[3:4], 1, v[3:4]
	s_waitcnt lgkmcnt(0)
	v_mov_b32_e32 v8, s1
	v_add_co_u32_e32 v3, vcc, s0, v3
	v_addc_co_u32_e32 v4, vcc, v8, v4, vcc
	v_cvt_f32_ubyte0_e32 v8, v10
	v_mul_f32_e32 v8, 0x3b800000, v8
	v_fma_f32 v8, v6, v8, v0
	v_bfe_u32 v10, v8, 16, 1
	s_movk_i32 s8, 0x7fff
	v_add3_u32 v10, v8, v10, s8
	v_cmp_o_f32_e32 vcc, v8, v8
	v_mov_b32_e32 v8, 0x7fc0
	v_cndmask_b32_sdwa v12, v8, v10, vcc dst_sel:DWORD dst_unused:UNUSED_PAD src0_sel:DWORD src1_sel:WORD_1
	v_or_b32_e32 v10, 1, v1
	v_mov_b32_e32 v11, v2
	v_cmp_gt_u64_e32 vcc, s[2:3], v[10:11]
	global_store_short v[3:4], v12, off
	s_and_b64 exec, exec, vcc
	s_cbranch_execz .LBB7_25
; %bb.22:
	v_cvt_f32_ubyte0_e32 v9, v9
	v_mul_f32_e32 v9, 0x3b800000, v9
	v_fma_f32 v9, v6, v9, v0
	v_bfe_u32 v10, v9, 16, 1
	v_add3_u32 v10, v9, v10, s8
	v_cmp_o_f32_e32 vcc, v9, v9
	v_cndmask_b32_sdwa v10, v8, v10, vcc dst_sel:DWORD dst_unused:UNUSED_PAD src0_sel:DWORD src1_sel:WORD_1
	v_or_b32_e32 v8, 2, v1
	v_mov_b32_e32 v9, v2
	v_cmp_gt_u64_e32 vcc, s[2:3], v[8:9]
	global_store_short v[3:4], v10, off offset:2
	s_and_b64 exec, exec, vcc
	s_cbranch_execz .LBB7_25
; %bb.23:
	v_cvt_f32_ubyte0_e32 v7, v7
	v_mul_f32_e32 v7, 0x3b800000, v7
	v_fma_f32 v7, v6, v7, v0
	v_bfe_u32 v8, v7, 16, 1
	v_add3_u32 v8, v7, v8, s8
	v_cmp_o_f32_e32 vcc, v7, v7
	v_mov_b32_e32 v7, 0x7fc0
	v_or_b32_e32 v1, 3, v1
	v_cndmask_b32_sdwa v8, v7, v8, vcc dst_sel:DWORD dst_unused:UNUSED_PAD src0_sel:DWORD src1_sel:WORD_1
	v_cmp_gt_u64_e32 vcc, s[2:3], v[1:2]
	global_store_short v[3:4], v8, off offset:4
	s_and_b64 exec, exec, vcc
	s_cbranch_execz .LBB7_25
; %bb.24:
	v_cvt_f32_ubyte0_e32 v1, v5
	v_mul_f32_e32 v1, 0x3b800000, v1
	v_fmac_f32_e32 v0, v6, v1
	v_bfe_u32 v1, v0, 16, 1
	v_add3_u32 v1, v0, v1, s8
	v_cmp_o_f32_e32 vcc, v0, v0
	v_cndmask_b32_sdwa v0, v7, v1, vcc dst_sel:DWORD dst_unused:UNUSED_PAD src0_sel:DWORD src1_sel:WORD_1
	global_store_short v[3:4], v0, off offset:6
.LBB7_25:
	s_or_b64 exec, exec, s[6:7]
                                        ; implicit-def: $vgpr10
                                        ; implicit-def: $vgpr6
                                        ; implicit-def: $vgpr0
                                        ; implicit-def: $vgpr9
                                        ; implicit-def: $vgpr7
                                        ; implicit-def: $vgpr5
                                        ; implicit-def: $vgpr3_vgpr4
.LBB7_26:
	s_andn2_saveexec_b64 s[2:3], s[4:5]
	s_cbranch_execz .LBB7_28
; %bb.27:
	v_cvt_f32_ubyte0_e32 v1, v10
	v_mul_f32_e32 v1, 0x3b800000, v1
	v_fma_f32 v8, v6, v1, v0
	v_bfe_u32 v1, v8, 16, 1
	s_movk_i32 s2, 0x7fff
	v_add3_u32 v10, v8, v1, s2
	v_cvt_f32_ubyte0_e32 v1, v9
	v_mul_f32_e32 v1, 0x3b800000, v1
	v_fma_f32 v9, v6, v1, v0
	v_bfe_u32 v1, v9, 16, 1
	v_add3_u32 v1, v9, v1, s2
	v_and_b32_e32 v11, 0xffff0000, v1
	v_cvt_f32_ubyte0_e32 v1, v7
	v_mul_f32_e32 v1, 0x3b800000, v1
	v_fma_f32 v7, v6, v1, v0
	v_bfe_u32 v1, v7, 16, 1
	v_add3_u32 v12, v7, v1, s2
	v_cvt_f32_ubyte0_e32 v1, v5
	v_mul_f32_e32 v1, 0x3b800000, v1
	v_fmac_f32_e32 v0, v6, v1
	v_bfe_u32 v1, v0, 16, 1
	v_add3_u32 v5, v0, v1, s2
	v_lshlrev_b64 v[1:2], 1, v[3:4]
	s_waitcnt lgkmcnt(0)
	v_mov_b32_e32 v3, s1
	v_add_co_u32_e32 v1, vcc, s0, v1
	v_addc_co_u32_e32 v2, vcc, v3, v2, vcc
	v_and_b32_e32 v3, 0xffff0000, v5
	v_mov_b32_e32 v4, 0x7fc00000
	v_cmp_o_f32_e32 vcc, v0, v0
	v_cndmask_b32_e32 v0, v4, v3, vcc
	v_cmp_o_f32_e32 vcc, v7, v7
	v_mov_b32_e32 v3, 0x7fc0
	v_cndmask_b32_sdwa v5, v3, v12, vcc dst_sel:DWORD dst_unused:UNUSED_PAD src0_sel:DWORD src1_sel:WORD_1
	v_cmp_o_f32_e32 vcc, v9, v9
	v_or_b32_e32 v0, v0, v5
	v_cndmask_b32_e32 v5, v4, v11, vcc
	v_cmp_o_f32_e32 vcc, v8, v8
	v_cndmask_b32_sdwa v3, v3, v10, vcc dst_sel:DWORD dst_unused:UNUSED_PAD src0_sel:DWORD src1_sel:WORD_1
	v_or3_b32 v4, v0, 0, 0
	v_or3_b32 v3, 0, v5, v3
	global_store_dwordx2 v[1:2], v[3:4], off
.LBB7_28:
	s_endpgm
	.section	.rodata,"a",@progbits
	.p2align	6, 0x0
	.amdhsa_kernel _ZN2at6native12_GLOBAL__N_123philox_multi_key_kernelIN3c108BFloat16EZZZZNS0_21_philox_uniform_cuda_ERNS_6TensorERKS5_ddENKUlvE_clEvENKUlvE2_clEvENKUlvE_clEvEUlmmE0_ZZZNS0_21_philox_uniform_cuda_ES6_S8_ddENKS9_clEvENKSA_clEvEUlT_E_EEvPSD_PKmllT0_T1_16OffsetCalculatorILi1EjLb0EE
		.amdhsa_group_segment_fixed_size 0
		.amdhsa_private_segment_fixed_size 0
		.amdhsa_kernarg_size 560
		.amdhsa_user_sgpr_count 6
		.amdhsa_user_sgpr_private_segment_buffer 1
		.amdhsa_user_sgpr_dispatch_ptr 0
		.amdhsa_user_sgpr_queue_ptr 0
		.amdhsa_user_sgpr_kernarg_segment_ptr 1
		.amdhsa_user_sgpr_dispatch_id 0
		.amdhsa_user_sgpr_flat_scratch_init 0
		.amdhsa_user_sgpr_private_segment_size 0
		.amdhsa_uses_dynamic_stack 0
		.amdhsa_system_sgpr_private_segment_wavefront_offset 0
		.amdhsa_system_sgpr_workgroup_id_x 1
		.amdhsa_system_sgpr_workgroup_id_y 0
		.amdhsa_system_sgpr_workgroup_id_z 0
		.amdhsa_system_sgpr_workgroup_info 0
		.amdhsa_system_vgpr_workitem_id 0
		.amdhsa_next_free_vgpr 26
		.amdhsa_next_free_sgpr 35
		.amdhsa_reserve_vcc 1
		.amdhsa_reserve_flat_scratch 0
		.amdhsa_float_round_mode_32 0
		.amdhsa_float_round_mode_16_64 0
		.amdhsa_float_denorm_mode_32 3
		.amdhsa_float_denorm_mode_16_64 3
		.amdhsa_dx10_clamp 1
		.amdhsa_ieee_mode 1
		.amdhsa_fp16_overflow 0
		.amdhsa_exception_fp_ieee_invalid_op 0
		.amdhsa_exception_fp_denorm_src 0
		.amdhsa_exception_fp_ieee_div_zero 0
		.amdhsa_exception_fp_ieee_overflow 0
		.amdhsa_exception_fp_ieee_underflow 0
		.amdhsa_exception_fp_ieee_inexact 0
		.amdhsa_exception_int_div_zero 0
	.end_amdhsa_kernel
	.section	.text._ZN2at6native12_GLOBAL__N_123philox_multi_key_kernelIN3c108BFloat16EZZZZNS0_21_philox_uniform_cuda_ERNS_6TensorERKS5_ddENKUlvE_clEvENKUlvE2_clEvENKUlvE_clEvEUlmmE0_ZZZNS0_21_philox_uniform_cuda_ES6_S8_ddENKS9_clEvENKSA_clEvEUlT_E_EEvPSD_PKmllT0_T1_16OffsetCalculatorILi1EjLb0EE,"axG",@progbits,_ZN2at6native12_GLOBAL__N_123philox_multi_key_kernelIN3c108BFloat16EZZZZNS0_21_philox_uniform_cuda_ERNS_6TensorERKS5_ddENKUlvE_clEvENKUlvE2_clEvENKUlvE_clEvEUlmmE0_ZZZNS0_21_philox_uniform_cuda_ES6_S8_ddENKS9_clEvENKSA_clEvEUlT_E_EEvPSD_PKmllT0_T1_16OffsetCalculatorILi1EjLb0EE,comdat
.Lfunc_end7:
	.size	_ZN2at6native12_GLOBAL__N_123philox_multi_key_kernelIN3c108BFloat16EZZZZNS0_21_philox_uniform_cuda_ERNS_6TensorERKS5_ddENKUlvE_clEvENKUlvE2_clEvENKUlvE_clEvEUlmmE0_ZZZNS0_21_philox_uniform_cuda_ES6_S8_ddENKS9_clEvENKSA_clEvEUlT_E_EEvPSD_PKmllT0_T1_16OffsetCalculatorILi1EjLb0EE, .Lfunc_end7-_ZN2at6native12_GLOBAL__N_123philox_multi_key_kernelIN3c108BFloat16EZZZZNS0_21_philox_uniform_cuda_ERNS_6TensorERKS5_ddENKUlvE_clEvENKUlvE2_clEvENKUlvE_clEvEUlmmE0_ZZZNS0_21_philox_uniform_cuda_ES6_S8_ddENKS9_clEvENKSA_clEvEUlT_E_EEvPSD_PKmllT0_T1_16OffsetCalculatorILi1EjLb0EE
                                        ; -- End function
	.set _ZN2at6native12_GLOBAL__N_123philox_multi_key_kernelIN3c108BFloat16EZZZZNS0_21_philox_uniform_cuda_ERNS_6TensorERKS5_ddENKUlvE_clEvENKUlvE2_clEvENKUlvE_clEvEUlmmE0_ZZZNS0_21_philox_uniform_cuda_ES6_S8_ddENKS9_clEvENKSA_clEvEUlT_E_EEvPSD_PKmllT0_T1_16OffsetCalculatorILi1EjLb0EE.num_vgpr, 26
	.set _ZN2at6native12_GLOBAL__N_123philox_multi_key_kernelIN3c108BFloat16EZZZZNS0_21_philox_uniform_cuda_ERNS_6TensorERKS5_ddENKUlvE_clEvENKUlvE2_clEvENKUlvE_clEvEUlmmE0_ZZZNS0_21_philox_uniform_cuda_ES6_S8_ddENKS9_clEvENKSA_clEvEUlT_E_EEvPSD_PKmllT0_T1_16OffsetCalculatorILi1EjLb0EE.num_agpr, 0
	.set _ZN2at6native12_GLOBAL__N_123philox_multi_key_kernelIN3c108BFloat16EZZZZNS0_21_philox_uniform_cuda_ERNS_6TensorERKS5_ddENKUlvE_clEvENKUlvE2_clEvENKUlvE_clEvEUlmmE0_ZZZNS0_21_philox_uniform_cuda_ES6_S8_ddENKS9_clEvENKSA_clEvEUlT_E_EEvPSD_PKmllT0_T1_16OffsetCalculatorILi1EjLb0EE.numbered_sgpr, 35
	.set _ZN2at6native12_GLOBAL__N_123philox_multi_key_kernelIN3c108BFloat16EZZZZNS0_21_philox_uniform_cuda_ERNS_6TensorERKS5_ddENKUlvE_clEvENKUlvE2_clEvENKUlvE_clEvEUlmmE0_ZZZNS0_21_philox_uniform_cuda_ES6_S8_ddENKS9_clEvENKSA_clEvEUlT_E_EEvPSD_PKmllT0_T1_16OffsetCalculatorILi1EjLb0EE.num_named_barrier, 0
	.set _ZN2at6native12_GLOBAL__N_123philox_multi_key_kernelIN3c108BFloat16EZZZZNS0_21_philox_uniform_cuda_ERNS_6TensorERKS5_ddENKUlvE_clEvENKUlvE2_clEvENKUlvE_clEvEUlmmE0_ZZZNS0_21_philox_uniform_cuda_ES6_S8_ddENKS9_clEvENKSA_clEvEUlT_E_EEvPSD_PKmllT0_T1_16OffsetCalculatorILi1EjLb0EE.private_seg_size, 0
	.set _ZN2at6native12_GLOBAL__N_123philox_multi_key_kernelIN3c108BFloat16EZZZZNS0_21_philox_uniform_cuda_ERNS_6TensorERKS5_ddENKUlvE_clEvENKUlvE2_clEvENKUlvE_clEvEUlmmE0_ZZZNS0_21_philox_uniform_cuda_ES6_S8_ddENKS9_clEvENKSA_clEvEUlT_E_EEvPSD_PKmllT0_T1_16OffsetCalculatorILi1EjLb0EE.uses_vcc, 1
	.set _ZN2at6native12_GLOBAL__N_123philox_multi_key_kernelIN3c108BFloat16EZZZZNS0_21_philox_uniform_cuda_ERNS_6TensorERKS5_ddENKUlvE_clEvENKUlvE2_clEvENKUlvE_clEvEUlmmE0_ZZZNS0_21_philox_uniform_cuda_ES6_S8_ddENKS9_clEvENKSA_clEvEUlT_E_EEvPSD_PKmllT0_T1_16OffsetCalculatorILi1EjLb0EE.uses_flat_scratch, 0
	.set _ZN2at6native12_GLOBAL__N_123philox_multi_key_kernelIN3c108BFloat16EZZZZNS0_21_philox_uniform_cuda_ERNS_6TensorERKS5_ddENKUlvE_clEvENKUlvE2_clEvENKUlvE_clEvEUlmmE0_ZZZNS0_21_philox_uniform_cuda_ES6_S8_ddENKS9_clEvENKSA_clEvEUlT_E_EEvPSD_PKmllT0_T1_16OffsetCalculatorILi1EjLb0EE.has_dyn_sized_stack, 0
	.set _ZN2at6native12_GLOBAL__N_123philox_multi_key_kernelIN3c108BFloat16EZZZZNS0_21_philox_uniform_cuda_ERNS_6TensorERKS5_ddENKUlvE_clEvENKUlvE2_clEvENKUlvE_clEvEUlmmE0_ZZZNS0_21_philox_uniform_cuda_ES6_S8_ddENKS9_clEvENKSA_clEvEUlT_E_EEvPSD_PKmllT0_T1_16OffsetCalculatorILi1EjLb0EE.has_recursion, 0
	.set _ZN2at6native12_GLOBAL__N_123philox_multi_key_kernelIN3c108BFloat16EZZZZNS0_21_philox_uniform_cuda_ERNS_6TensorERKS5_ddENKUlvE_clEvENKUlvE2_clEvENKUlvE_clEvEUlmmE0_ZZZNS0_21_philox_uniform_cuda_ES6_S8_ddENKS9_clEvENKSA_clEvEUlT_E_EEvPSD_PKmllT0_T1_16OffsetCalculatorILi1EjLb0EE.has_indirect_call, 0
	.section	.AMDGPU.csdata,"",@progbits
; Kernel info:
; codeLenInByte = 3004
; TotalNumSgprs: 39
; NumVgprs: 26
; ScratchSize: 0
; MemoryBound: 0
; FloatMode: 240
; IeeeMode: 1
; LDSByteSize: 0 bytes/workgroup (compile time only)
; SGPRBlocks: 4
; VGPRBlocks: 6
; NumSGPRsForWavesPerEU: 39
; NumVGPRsForWavesPerEU: 26
; Occupancy: 9
; WaveLimiterHint : 1
; COMPUTE_PGM_RSRC2:SCRATCH_EN: 0
; COMPUTE_PGM_RSRC2:USER_SGPR: 6
; COMPUTE_PGM_RSRC2:TRAP_HANDLER: 0
; COMPUTE_PGM_RSRC2:TGID_X_EN: 1
; COMPUTE_PGM_RSRC2:TGID_Y_EN: 0
; COMPUTE_PGM_RSRC2:TGID_Z_EN: 0
; COMPUTE_PGM_RSRC2:TIDIG_COMP_CNT: 0
	.section	.text._ZN2at6native12_GLOBAL__N_124philox_single_key_kernelIdZZZZNS0_20_philox_normal_cuda_ERNS_6TensorERKS3_ddENKUlvE_clEvENKUlvE_clEvENKUlvE_clEvEUlmmE_ZZZNS0_20_philox_normal_cuda_ES4_S6_ddENKS7_clEvENKS8_clEvEUldE_EEvPT_PKmlT0_T1_,"axG",@progbits,_ZN2at6native12_GLOBAL__N_124philox_single_key_kernelIdZZZZNS0_20_philox_normal_cuda_ERNS_6TensorERKS3_ddENKUlvE_clEvENKUlvE_clEvENKUlvE_clEvEUlmmE_ZZZNS0_20_philox_normal_cuda_ES4_S6_ddENKS7_clEvENKS8_clEvEUldE_EEvPT_PKmlT0_T1_,comdat
	.globl	_ZN2at6native12_GLOBAL__N_124philox_single_key_kernelIdZZZZNS0_20_philox_normal_cuda_ERNS_6TensorERKS3_ddENKUlvE_clEvENKUlvE_clEvENKUlvE_clEvEUlmmE_ZZZNS0_20_philox_normal_cuda_ES4_S6_ddENKS7_clEvENKS8_clEvEUldE_EEvPT_PKmlT0_T1_ ; -- Begin function _ZN2at6native12_GLOBAL__N_124philox_single_key_kernelIdZZZZNS0_20_philox_normal_cuda_ERNS_6TensorERKS3_ddENKUlvE_clEvENKUlvE_clEvENKUlvE_clEvEUlmmE_ZZZNS0_20_philox_normal_cuda_ES4_S6_ddENKS7_clEvENKS8_clEvEUldE_EEvPT_PKmlT0_T1_
	.p2align	8
	.type	_ZN2at6native12_GLOBAL__N_124philox_single_key_kernelIdZZZZNS0_20_philox_normal_cuda_ERNS_6TensorERKS3_ddENKUlvE_clEvENKUlvE_clEvENKUlvE_clEvEUlmmE_ZZZNS0_20_philox_normal_cuda_ES4_S6_ddENKS7_clEvENKS8_clEvEUldE_EEvPT_PKmlT0_T1_,@function
_ZN2at6native12_GLOBAL__N_124philox_single_key_kernelIdZZZZNS0_20_philox_normal_cuda_ERNS_6TensorERKS3_ddENKUlvE_clEvENKUlvE_clEvENKUlvE_clEvEUlmmE_ZZZNS0_20_philox_normal_cuda_ES4_S6_ddENKS7_clEvENKS8_clEvEUldE_EEvPT_PKmlT0_T1_: ; @_ZN2at6native12_GLOBAL__N_124philox_single_key_kernelIdZZZZNS0_20_philox_normal_cuda_ERNS_6TensorERKS3_ddENKUlvE_clEvENKUlvE_clEvENKUlvE_clEvEUlmmE_ZZZNS0_20_philox_normal_cuda_ES4_S6_ddENKS7_clEvENKS8_clEvEUldE_EEvPT_PKmlT0_T1_
; %bb.0:
	s_load_dwordx2 s[20:21], s[6:7], 0x10
	s_load_dwordx4 s[16:19], s[6:7], 0x0
	s_load_dword s2, s[6:7], 0x3c
	s_load_dwordx4 s[12:15], s[6:7], 0x20
	v_mov_b32_e32 v3, v1
	s_waitcnt lgkmcnt(0)
	s_lshr_b32 s0, s21, 31
	s_add_u32 s0, s20, s0
	s_addc_u32 s1, s21, 0
	s_and_b32 s2, s2, 0xffff
	v_mov_b32_e32 v1, 0
	v_mov_b32_e32 v4, s8
	v_mad_u64_u32 v[4:5], s[2:3], s2, v4, v[0:1]
	s_load_dwordx4 s[8:11], s[18:19], 0x0
	s_ashr_i64 s[6:7], s[0:1], 1
	v_cmp_gt_i64_e32 vcc, s[6:7], v[4:5]
	s_and_saveexec_b64 s[18:19], vcc
	s_cbranch_execz .LBB8_6
; %bb.1:
	s_waitcnt lgkmcnt(0)
	v_add_co_u32_e32 v6, vcc, s10, v4
	s_mov_b32 s0, 0xd2511f53
	v_mul_hi_u32 v7, v6, s0
	v_mov_b32_e32 v1, s11
	v_addc_co_u32_e32 v1, vcc, v5, v1, vcc
	v_mul_lo_u32 v6, v6, s0
	v_xor_b32_e32 v1, s8, v1
	v_xor_b32_e32 v7, s9, v7
	s_mov_b32 s3, 0xcd9e8d57
	v_mul_lo_u32 v9, v1, s0
	v_mul_hi_u32 v1, v1, s0
	v_mul_hi_u32 v8, v7, s3
	s_add_i32 s2, s9, 0xbb67ae85
	v_xor_b32_e32 v6, s2, v6
	s_add_i32 s1, s8, 0x9e3779b9
	v_mul_lo_u32 v7, v7, s3
	v_xor_b32_e32 v1, v6, v1
	v_xor_b32_e32 v8, s1, v8
	v_mul_hi_u32 v10, v1, s3
	v_mul_lo_u32 v6, v8, s0
	v_mul_hi_u32 v8, v8, s0
	s_add_i32 s1, s8, 0x3c6ef372
	s_add_i32 s2, s9, 0x76cf5d0a
	v_xor_b32_e32 v7, s1, v7
	v_xor_b32_e32 v7, v7, v10
	;; [unrolled: 1-line block ×3, first 2 shown]
	v_mul_lo_u32 v1, v1, s3
	v_xor_b32_e32 v8, v9, v8
	v_mul_lo_u32 v9, v7, s0
	v_mul_hi_u32 v7, v7, s0
	v_mul_hi_u32 v10, v8, s3
	s_add_i32 s2, s9, 0x32370b8f
	s_add_i32 s1, s8, 0xdaa66d2b
	v_xor_b32_e32 v6, s2, v6
	v_mul_lo_u32 v8, v8, s3
	v_xor_b32_e32 v1, s1, v1
	v_xor_b32_e32 v6, v6, v7
	;; [unrolled: 1-line block ×3, first 2 shown]
	v_mul_hi_u32 v10, v6, s3
	v_mul_lo_u32 v7, v1, s0
	v_mul_hi_u32 v1, v1, s0
	s_add_i32 s1, s8, 0x78dde6e4
	s_add_i32 s2, s9, 0xed9eba14
	v_xor_b32_e32 v8, s1, v8
	v_xor_b32_e32 v8, v8, v10
	;; [unrolled: 1-line block ×3, first 2 shown]
	v_mul_lo_u32 v6, v6, s3
	v_xor_b32_e32 v1, v9, v1
	v_mul_lo_u32 v9, v8, s0
	v_mul_hi_u32 v8, v8, s0
	v_mul_hi_u32 v10, v1, s3
	s_add_i32 s2, s9, 0xa9066899
	s_add_i32 s1, s8, 0x1715609d
	v_xor_b32_e32 v7, s2, v7
	v_mul_lo_u32 v1, v1, s3
	v_xor_b32_e32 v6, s1, v6
	v_xor_b32_e32 v7, v7, v8
	;; [unrolled: 1-line block ×3, first 2 shown]
	v_mul_hi_u32 v8, v7, s3
	v_mul_lo_u32 v10, v6, s0
	v_mul_hi_u32 v6, v6, s0
	s_add_i32 s1, s8, 0xb54cda56
	s_add_i32 s2, s9, 0x646e171e
	v_xor_b32_e32 v1, s1, v1
	v_xor_b32_e32 v13, v1, v8
	;; [unrolled: 1-line block ×4, first 2 shown]
	v_mul_hi_u32 v6, v13, s0
	s_add_i32 s1, s9, 0x1fd5c5a3
	v_xor_b32_e32 v9, s1, v10
	v_mul_lo_u32 v8, v1, s3
	v_xor_b32_e32 v12, v9, v6
	v_mul_hi_u32 v6, v12, s3
	s_add_i32 s1, s8, 0xf1bbcdc8
	v_xor_b32_e32 v8, s1, v8
	v_mul_lo_u32 v9, v7, s3
	v_xor_b32_e32 v8, v8, v6
	v_mul_lo_u32 v6, v8, s0
	s_movk_i32 s2, 0xffe0
	v_mul_hi_u32 v1, v1, s3
	s_add_i32 s1, s8, 0x5384540f
	v_cvt_f64_u32_e32 v[6:7], v6
	v_xor_b32_e32 v9, s1, v9
	v_xor_b32_e32 v14, v9, v1
	v_mul_lo_u32 v1, v14, s0
	v_ldexp_f64 v[6:7], v[6:7], s2
	v_mul_hi_u32 v10, v8, s0
	v_mov_b32_e32 v8, 0
	s_mov_b32 s0, 0
	v_mov_b32_e32 v9, 0x3be00000
	s_mov_b32 s1, 0x3df00000
	s_add_i32 s2, s9, 0x96a522ad
	v_xor_b32_e32 v1, s2, v1
	v_fma_f64 v[6:7], v[6:7], s[0:1], v[8:9]
	v_xor_b32_e32 v1, v1, v10
	v_cvt_f64_u32_e32 v[8:9], v1
	s_mov_b32 s2, 0
	s_mov_b32 s3, 0x41d00000
                                        ; implicit-def: $vgpr1
                                        ; implicit-def: $vgpr10_vgpr11
	v_fma_f64 v[6:7], v[8:9], s[0:1], v[6:7]
	s_mov_b32 s1, 0x401921fb
	s_mov_b32 s0, 0x54442d18
                                        ; implicit-def: $vgpr8_vgpr9
	v_mul_f64 v[6:7], v[6:7], s[0:1]
	v_cmp_nlt_f64_e64 s[2:3], |v[6:7]|, s[2:3]
	s_and_saveexec_b64 s[22:23], s[2:3]
	s_xor_b64 s[2:3], exec, s[22:23]
	s_cbranch_execz .LBB8_3
; %bb.2:
	v_trig_preop_f64 v[8:9], |v[6:7]|, 0
	s_mov_b32 s22, 0
	s_mov_b32 s23, 0x7b000000
	s_movk_i32 s1, 0xff80
	v_cmp_ge_f64_e64 vcc, |v[6:7]|, s[22:23]
	v_ldexp_f64 v[10:11], |v[6:7]|, s1
	v_trig_preop_f64 v[15:16], |v[6:7]|, 1
	v_and_b32_e32 v1, 0x7fffffff, v7
	v_trig_preop_f64 v[21:22], |v[6:7]|, 2
	s_mov_b32 s22, 0
	s_mov_b32 s23, 0x7ff00000
	;; [unrolled: 1-line block ×3, first 2 shown]
	v_cndmask_b32_e32 v11, v1, v11, vcc
	v_cndmask_b32_e32 v10, v6, v10, vcc
	v_mov_b32_e32 v1, 0x40100000
	v_mul_f64 v[17:18], v[8:9], v[10:11]
	v_mul_f64 v[19:20], v[15:16], v[10:11]
	;; [unrolled: 1-line block ×3, first 2 shown]
	v_fma_f64 v[8:9], v[8:9], v[10:11], -v[17:18]
	v_fma_f64 v[15:16], v[15:16], v[10:11], -v[19:20]
	v_add_f64 v[23:24], v[19:20], v[8:9]
	v_add_f64 v[25:26], v[23:24], -v[19:20]
	v_add_f64 v[29:30], v[8:9], -v[25:26]
	;; [unrolled: 1-line block ×3, first 2 shown]
	v_add_f64 v[25:26], v[27:28], v[15:16]
	v_add_f64 v[19:20], v[19:20], -v[8:9]
	v_fma_f64 v[8:9], v[21:22], v[10:11], -v[27:28]
	v_add_f64 v[10:11], v[17:18], v[23:24]
	v_add_f64 v[21:22], v[25:26], -v[27:28]
	v_add_f64 v[19:20], v[29:30], v[19:20]
	v_add_f64 v[17:18], v[10:11], -v[17:18]
	v_ldexp_f64 v[10:11], v[10:11], -2
	v_add_f64 v[15:16], v[15:16], -v[21:22]
	v_add_f64 v[21:22], v[25:26], -v[21:22]
	;; [unrolled: 1-line block ×3, first 2 shown]
	v_fract_f64_e32 v[23:24], v[10:11]
	v_cmp_neq_f64_e64 vcc, |v[10:11]|, s[22:23]
	v_add_f64 v[21:22], v[27:28], -v[21:22]
	v_add_f64 v[27:28], v[25:26], v[19:20]
	s_mov_b32 s22, 0x33145c07
	s_mov_b32 s23, 0x3c91a626
	v_ldexp_f64 v[10:11], v[23:24], 2
	v_add_f64 v[15:16], v[15:16], v[21:22]
	v_add_f64 v[23:24], v[17:18], v[27:28]
	v_cndmask_b32_e32 v11, 0, v11, vcc
	v_cndmask_b32_e32 v10, 0, v10, vcc
	v_add_f64 v[21:22], v[23:24], v[10:11]
	v_add_f64 v[17:18], v[23:24], -v[17:18]
	v_cmp_gt_f64_e32 vcc, 0, v[21:22]
	v_add_f64 v[21:22], v[27:28], -v[25:26]
	v_add_f64 v[17:18], v[27:28], -v[17:18]
	;; [unrolled: 1-line block ×5, first 2 shown]
	v_mov_b32_e32 v25, 0
	v_cndmask_b32_e32 v26, 0, v1, vcc
	v_add_f64 v[10:11], v[10:11], v[25:26]
	v_add_f64 v[19:20], v[19:20], v[21:22]
	;; [unrolled: 1-line block ×4, first 2 shown]
	v_cvt_i32_f64_e32 v1, v[29:30]
	v_cvt_f64_i32_e32 v[21:22], v1
	v_add_f64 v[8:9], v[8:9], v[15:16]
	v_mov_b32_e32 v15, 0x3ff00000
	v_add_f64 v[10:11], v[10:11], -v[21:22]
	v_add_f64 v[8:9], v[17:18], v[8:9]
	v_add_f64 v[19:20], v[23:24], v[10:11]
	v_add_f64 v[10:11], v[19:20], -v[10:11]
	v_cmp_le_f64_e32 vcc, 0.5, v[19:20]
	v_add_f64 v[10:11], v[23:24], -v[10:11]
	v_cndmask_b32_e32 v26, 0, v15, vcc
	v_addc_co_u32_e32 v1, vcc, 0, v1, vcc
	v_add_f64 v[8:9], v[8:9], v[10:11]
	v_add_f64 v[10:11], v[19:20], -v[25:26]
	v_add_f64 v[15:16], v[10:11], v[8:9]
	v_mul_f64 v[17:18], v[15:16], s[0:1]
	v_add_f64 v[10:11], v[15:16], -v[10:11]
	v_fma_f64 v[19:20], v[15:16], s[0:1], -v[17:18]
	v_add_f64 v[8:9], v[8:9], -v[10:11]
	v_fma_f64 v[10:11], v[15:16], s[22:23], v[19:20]
	v_fma_f64 v[10:11], v[8:9], s[0:1], v[10:11]
	v_add_f64 v[8:9], v[17:18], v[10:11]
	v_add_f64 v[15:16], v[8:9], -v[17:18]
	v_add_f64 v[10:11], v[10:11], -v[15:16]
.LBB8_3:
	s_andn2_saveexec_b64 s[0:1], s[2:3]
	s_cbranch_execz .LBB8_5
; %bb.4:
	s_mov_b32 s2, 0x6dc9c883
	s_mov_b32 s3, 0x3fe45f30
	v_mul_f64 v[8:9], |v[6:7]|, s[2:3]
	s_mov_b32 s2, 0x54442d18
	s_mov_b32 s3, 0xbff921fb
	;; [unrolled: 1-line block ×4, first 2 shown]
	v_rndne_f64_e32 v[15:16], v[8:9]
	v_fma_f64 v[8:9], v[15:16], s[2:3], |v[6:7]|
	v_mul_f64 v[10:11], v[15:16], s[22:23]
	s_mov_b32 s2, 0x252049c0
	s_mov_b32 s3, 0xb97b839a
	v_cvt_i32_f64_e32 v1, v[15:16]
	v_fma_f64 v[21:22], v[15:16], s[22:23], v[8:9]
	v_add_f64 v[17:18], v[8:9], v[10:11]
	s_mov_b32 s23, 0x3c91a626
	v_add_f64 v[19:20], v[8:9], -v[17:18]
	v_add_f64 v[17:18], v[17:18], -v[21:22]
	v_add_f64 v[8:9], v[19:20], v[10:11]
	v_fma_f64 v[10:11], v[15:16], s[22:23], v[10:11]
	v_add_f64 v[8:9], v[17:18], v[8:9]
	v_add_f64 v[8:9], v[8:9], -v[10:11]
	v_fma_f64 v[10:11], v[15:16], s[2:3], v[8:9]
	v_add_f64 v[8:9], v[21:22], v[10:11]
	v_add_f64 v[17:18], v[8:9], -v[21:22]
	v_add_f64 v[10:11], v[10:11], -v[17:18]
.LBB8_5:
	s_or_b64 exec, exec, s[0:1]
	s_mov_b32 s0, 0xd2511f53
	v_mul_lo_u32 v13, v13, s0
	v_mul_hi_u32 v14, v14, s0
	s_add_i32 s0, s9, 0xdb3d7428
	s_mov_b32 s2, 0xcd9e8d57
	v_xor_b32_e32 v13, s0, v13
	v_xor_b32_e32 v17, v13, v14
	v_mul_lo_u32 v13, v17, s2
	s_movk_i32 s0, 0xffe0
	v_mov_b32_e32 v15, 0
	v_mul_lo_u32 v18, v12, s2
	v_cvt_f64_u32_e32 v[13:14], v13
	v_mov_b32_e32 v16, 0x3be00000
	v_mul_hi_u32 v17, v17, s2
	s_add_i32 s2, s8, 0x8ff34781
	v_ldexp_f64 v[13:14], v[13:14], s0
	s_mov_b32 s0, 0
	s_mov_b32 s1, 0x3df00000
	;; [unrolled: 1-line block ×4, first 2 shown]
	v_mul_f64 v[28:29], v[10:11], 0.5
	s_mov_b32 s24, 0x46cc5e42
	s_mov_b32 s25, 0xbda907db
	v_fma_f64 v[12:13], v[13:14], s[0:1], v[15:16]
	v_xor_b32_e32 v14, s2, v18
	v_xor_b32_e32 v14, v14, v17
	v_cvt_f64_u32_e32 v[14:15], v14
	v_fma_f64 v[12:13], v[14:15], s[0:1], v[12:13]
	s_mov_b32 s0, 0xfefa39ef
	s_mov_b32 s1, 0x3fe62e42
	v_frexp_mant_f64_e32 v[14:15], v[12:13]
	v_cmp_neq_f64_e64 s[2:3], 0, v[12:13]
	v_cmp_gt_f64_e32 vcc, s[22:23], v[14:15]
	v_cndmask_b32_e64 v16, 0, 1, vcc
	v_ldexp_f64 v[14:15], v[14:15], v16
	v_add_f64 v[16:17], v[14:15], 1.0
	v_rcp_f64_e32 v[18:19], v[16:17]
	v_add_f64 v[22:23], v[16:17], -1.0
	v_fma_f64 v[20:21], -v[16:17], v[18:19], 1.0
	v_fma_f64 v[18:19], v[20:21], v[18:19], v[18:19]
	v_fma_f64 v[20:21], -v[16:17], v[18:19], 1.0
	v_fma_f64 v[18:19], v[20:21], v[18:19], v[18:19]
	v_add_f64 v[20:21], v[14:15], -1.0
	v_add_f64 v[14:15], v[14:15], -v[22:23]
	v_mul_f64 v[22:23], v[20:21], v[18:19]
	v_mul_f64 v[24:25], v[16:17], v[22:23]
	v_fma_f64 v[16:17], v[22:23], v[16:17], -v[24:25]
	v_fma_f64 v[14:15], v[22:23], v[14:15], v[16:17]
	v_add_f64 v[16:17], v[24:25], v[14:15]
	v_add_f64 v[24:25], v[16:17], -v[24:25]
	v_add_f64 v[14:15], v[24:25], -v[14:15]
	;; [unrolled: 1-line block ×5, first 2 shown]
	v_add_f64 v[14:15], v[14:15], v[16:17]
	v_frexp_exp_i32_f64_e32 v16, v[12:13]
	v_add_f64 v[20:21], v[24:25], v[14:15]
	v_subbrev_co_u32_e32 v16, vcc, 0, v16, vcc
	v_cvt_f64_i32_e32 v[16:17], v16
	v_mul_f64 v[14:15], v[16:17], s[0:1]
	v_mul_f64 v[18:19], v[18:19], v[20:21]
	v_fma_f64 v[20:21], v[16:17], s[0:1], -v[14:15]
	s_mov_b32 s0, 0x3b39803f
	s_mov_b32 s1, 0x3c7abc9e
	v_fma_f64 v[16:17], v[16:17], s[0:1], v[20:21]
	v_add_f64 v[20:21], v[22:23], v[18:19]
	s_mov_b32 s0, 0xbf559e2b
	s_mov_b32 s1, 0x3fc3ab76
	v_add_f64 v[22:23], v[20:21], -v[22:23]
	v_mul_f64 v[24:25], v[20:21], v[20:21]
	v_add_f64 v[18:19], v[18:19], -v[22:23]
	v_mov_b32_e32 v22, 0x6b47b09a
	v_mov_b32_e32 v23, 0x3fc38538
	v_fma_f64 v[22:23], v[24:25], s[0:1], v[22:23]
	s_mov_b32 s0, 0xd7f4df2e
	s_mov_b32 s1, 0x3fc7474d
	v_ldexp_f64 v[18:19], v[18:19], 1
	v_fma_f64 v[22:23], v[24:25], v[22:23], s[0:1]
	s_mov_b32 s0, 0x16291751
	s_mov_b32 s1, 0x3fcc71c0
	v_fma_f64 v[22:23], v[24:25], v[22:23], s[0:1]
	s_mov_b32 s0, 0x9b27acf1
	s_mov_b32 s1, 0x3fd24924
	;; [unrolled: 3-line block ×4, first 2 shown]
	s_mov_b32 s23, 0x3fa55555
	v_fma_f64 v[22:23], v[24:25], v[22:23], s[0:1]
	v_mul_f64 v[24:25], v[20:21], v[24:25]
	v_ldexp_f64 v[20:21], v[20:21], 1
	s_mov_b32 s0, 0xf9a43bb8
	s_mov_b32 s1, 0x3de5e0b2
	v_mul_f64 v[22:23], v[24:25], v[22:23]
	v_add_f64 v[24:25], v[20:21], v[22:23]
	v_add_f64 v[20:21], v[24:25], -v[20:21]
	v_add_f64 v[20:21], v[22:23], -v[20:21]
	v_add_f64 v[18:19], v[18:19], v[20:21]
	v_add_f64 v[20:21], v[14:15], v[16:17]
	v_add_f64 v[14:15], v[20:21], -v[14:15]
	v_add_f64 v[14:15], v[16:17], -v[14:15]
	v_add_f64 v[16:17], v[24:25], v[18:19]
	v_add_f64 v[22:23], v[16:17], -v[24:25]
	v_add_f64 v[24:25], v[20:21], v[16:17]
	v_add_f64 v[18:19], v[18:19], -v[22:23]
	v_add_f64 v[26:27], v[24:25], -v[20:21]
	;; [unrolled: 1-line block ×5, first 2 shown]
	v_add_f64 v[16:17], v[16:17], v[20:21]
	v_add_f64 v[20:21], v[14:15], v[18:19]
	;; [unrolled: 1-line block ×3, first 2 shown]
	v_add_f64 v[16:17], v[20:21], -v[14:15]
	v_add_f64 v[26:27], v[24:25], v[22:23]
	v_add_f64 v[20:21], v[20:21], -v[16:17]
	v_add_f64 v[16:17], v[18:19], -v[16:17]
	;; [unrolled: 1-line block ×3, first 2 shown]
	v_add_f64 v[18:19], v[16:17], v[14:15]
	v_add_f64 v[14:15], v[26:27], -v[24:25]
	v_mul_f64 v[16:17], v[8:9], v[8:9]
	v_add_f64 v[22:23], v[22:23], -v[14:15]
	v_mul_f64 v[20:21], v[16:17], 0.5
	v_add_f64 v[22:23], v[18:19], v[22:23]
	v_mov_b32_e32 v18, 0xb42fdfa7
	v_mov_b32_e32 v19, 0xbe5ae600
	v_fma_f64 v[18:19], v[16:17], s[0:1], v[18:19]
	s_mov_b32 s0, 0x796cde01
	s_mov_b32 s1, 0x3ec71de3
	v_add_f64 v[14:15], -v[20:21], 1.0
	v_add_f64 v[22:23], v[26:27], v[22:23]
	v_fma_f64 v[18:19], v[16:17], v[18:19], s[0:1]
	s_mov_b32 s0, 0x19e83e5c
	s_mov_b32 s1, 0xbf2a01a0
	v_add_f64 v[24:25], -v[14:15], 1.0
	v_fma_f64 v[18:19], v[16:17], v[18:19], s[0:1]
	s_mov_b32 s0, 0x11110bb3
	s_mov_b32 s1, 0x3f811111
	v_add_f64 v[20:21], v[24:25], -v[20:21]
	v_fma_f64 v[24:25], v[16:17], v[18:19], s[0:1]
	v_mul_f64 v[18:19], v[8:9], -v[16:17]
	s_movk_i32 s0, 0x204
	v_cmp_class_f64_e64 vcc, v[12:13], s0
	v_cmp_nge_f64_e64 s[0:1], 0, v[12:13]
	v_fma_f64 v[24:25], v[18:19], v[24:25], v[28:29]
	v_cndmask_b32_e32 v23, v23, v13, vcc
	v_cndmask_b32_e32 v22, v22, v12, vcc
	v_cmp_ngt_f64_e32 vcc, 0, v[12:13]
	v_fma_f64 v[12:13], v[8:9], -v[10:11], v[20:21]
	v_mul_f64 v[22:23], v[22:23], -2.0
	v_fma_f64 v[20:21], v[16:17], v[24:25], -v[10:11]
	v_mov_b32_e32 v10, 0x9037ab78
	v_mov_b32_e32 v11, 0x3e21eeb6
	v_fma_f64 v[10:11], v[16:17], s[24:25], v[10:11]
	s_mov_b32 s24, 0xa17f65f6
	s_mov_b32 s25, 0xbe927e4f
	v_fma_f64 v[10:11], v[16:17], v[10:11], s[24:25]
	s_mov_b32 s24, 0x19f4ec90
	s_mov_b32 s25, 0x3efa01a0
	;; [unrolled: 3-line block ×3, first 2 shown]
	v_fma_f64 v[10:11], v[16:17], v[10:11], s[24:25]
	s_mov_b32 s24, 0
	s_brev_b32 s25, 8
	v_fma_f64 v[10:11], v[16:17], v[10:11], s[22:23]
	v_mul_f64 v[16:17], v[16:17], v[16:17]
	s_mov_b32 s23, 0xbfc55555
	v_fma_f64 v[18:19], v[18:19], s[22:23], v[20:21]
	v_fma_f64 v[16:17], v[16:17], v[10:11], v[12:13]
	v_mov_b32_e32 v12, 0x7ff80000
	v_mov_b32_e32 v11, 0x7ff00000
	v_cndmask_b32_e32 v13, v12, v23, vcc
	v_cndmask_b32_e64 v10, 0, v22, s[0:1]
	v_cndmask_b32_e64 v11, v11, v13, s[2:3]
	v_cmp_gt_f64_e32 vcc, s[24:25], v[10:11]
	v_mov_b32_e32 v13, 0x100
	v_add_f64 v[8:9], v[8:9], -v[18:19]
	v_lshlrev_b32_e32 v18, 30, v1
	v_and_b32_e32 v1, 1, v1
	s_movk_i32 s2, 0x1f8
	v_cmp_eq_u32_e64 s[0:1], 0, v1
	v_and_b32_e32 v1, 0x80000000, v18
	v_cndmask_b32_e32 v13, 0, v13, vcc
	v_ldexp_f64 v[10:11], v[10:11], v13
	v_add_f64 v[13:14], v[14:15], v[16:17]
	v_xor_b32_e32 v18, v18, v7
	v_cmp_class_f64_e64 s[2:3], v[6:7], s2
	v_mov_b32_e32 v17, 0x260
	v_rsq_f64_e32 v[22:23], v[10:11]
	v_mul_f64 v[20:21], v[10:11], v[22:23]
	v_mul_f64 v[22:23], v[22:23], 0.5
	v_fma_f64 v[24:25], -v[22:23], v[20:21], 0.5
	v_fma_f64 v[20:21], v[20:21], v[24:25], v[20:21]
	v_fma_f64 v[22:23], v[22:23], v[24:25], v[22:23]
	v_fma_f64 v[24:25], -v[20:21], v[20:21], v[10:11]
	v_fma_f64 v[20:21], v[24:25], v[22:23], v[20:21]
	v_mov_b32_e32 v24, 0xffffff80
	v_fma_f64 v[15:16], -v[20:21], v[20:21], v[10:11]
	v_fma_f64 v[6:7], v[15:16], v[22:23], v[20:21]
	v_cndmask_b32_e64 v16, v13, v8, s[0:1]
	v_cndmask_b32_e64 v8, v8, v13, s[0:1]
	v_cndmask_b32_e32 v13, 0, v24, vcc
	v_cmp_class_f64_e32 vcc, v[10:11], v17
	v_and_b32_e32 v15, 0x80000000, v18
	v_cndmask_b32_e64 v18, v14, v9, s[0:1]
	v_xor_b32_e32 v9, 0x80000000, v9
	v_ldexp_f64 v[6:7], v[6:7], v13
	v_cndmask_b32_e64 v9, v9, v14, s[0:1]
	v_xor_b32_e32 v15, v18, v15
	v_xor_b32_e32 v1, v9, v1
	v_cndmask_b32_e64 v8, 0, v8, s[2:3]
	v_cndmask_b32_e64 v13, 0, v16, s[2:3]
	v_cndmask_b32_e64 v14, v12, v15, s[2:3]
	v_cndmask_b32_e64 v9, v12, v1, s[2:3]
	v_cndmask_b32_e32 v7, v7, v11, vcc
	v_cndmask_b32_e32 v6, v6, v10, vcc
	v_mul_f64 v[8:9], v[6:7], v[8:9]
	v_mul_f64 v[10:11], v[6:7], v[13:14]
	v_mov_b32_e32 v12, s12
	v_mov_b32_e32 v13, s13
	;; [unrolled: 1-line block ×3, first 2 shown]
	v_fma_f64 v[6:7], s[14:15], v[8:9], v[12:13]
	v_fma_f64 v[8:9], s[14:15], v[10:11], v[12:13]
	v_lshlrev_b64 v[10:11], 4, v[4:5]
	v_add_co_u32_e32 v10, vcc, s16, v10
	v_addc_co_u32_e32 v11, vcc, v1, v11, vcc
	global_store_dwordx4 v[10:11], v[6:9], off
.LBB8_6:
	s_or_b64 exec, exec, s[18:19]
	v_cmp_eq_u64_e32 vcc, s[6:7], v[4:5]
	s_and_saveexec_b64 s[0:1], vcc
	s_cbranch_execz .LBB8_14
; %bb.7:
	s_waitcnt lgkmcnt(0)
	s_add_u32 s0, s10, s6
	s_mul_hi_u32 s1, s0, 0xd2511f53
	s_addc_u32 s2, s11, s7
	s_mul_i32 s3, s0, 0xd2511f53
	s_xor_b64 s[0:1], s[0:1], s[8:9]
	s_xor_b32 s2, s2, s8
	s_add_i32 s0, s8, 0x9e3779b9
	s_add_i32 s10, s9, 0xbb67ae85
	s_mul_i32 s18, s1, 0xcd9e8d57
	s_mul_hi_u32 s1, s1, 0xcd9e8d57
	s_mul_i32 s11, s2, 0xd2511f53
	s_mul_hi_u32 s2, s2, 0xd2511f53
	s_xor_b32 s0, s0, s1
	s_xor_b32 s1, s3, s10
	s_xor_b32 s1, s1, s2
	s_add_i32 s2, s8, 0x3c6ef372
	s_add_i32 s3, s9, 0x76cf5d0a
	s_mul_i32 s19, s1, 0xcd9e8d57
	s_mul_hi_u32 s1, s1, 0xcd9e8d57
	s_xor_b32 s2, s18, s2
	s_mul_i32 s10, s0, 0xd2511f53
	s_mul_hi_u32 s0, s0, 0xd2511f53
	s_xor_b32 s1, s2, s1
	s_xor_b32 s2, s11, s3
	s_xor_b32 s0, s2, s0
	s_add_i32 s2, s8, 0xdaa66d2b
	s_add_i32 s3, s9, 0x32370b8f
	s_mul_i32 s18, s0, 0xcd9e8d57
	s_mul_hi_u32 s0, s0, 0xcd9e8d57
	s_xor_b32 s2, s19, s2
	;; [unrolled: 10-line block ×5, first 2 shown]
	s_mul_i32 s10, s0, 0xd2511f53
	s_mul_hi_u32 s0, s0, 0xd2511f53
	s_xor_b32 s23, s2, s1
	s_xor_b32 s1, s11, s3
	;; [unrolled: 1-line block ×3, first 2 shown]
	s_add_i32 s1, s9, 0x1fd5c5a3
	s_mul_hi_u32 s2, s23, 0xd2511f53
	s_xor_b32 s1, s10, s1
	s_mul_i32 s3, s0, 0xcd9e8d57
	s_xor_b32 s22, s1, s2
	s_add_i32 s1, s8, 0xf1bbcdc8
	s_mul_hi_u32 s2, s22, 0xcd9e8d57
	s_xor_b32 s1, s3, s1
	s_xor_b32 s2, s1, s2
	s_mul_i32 s1, s2, 0xd2511f53
	v_cvt_f64_u32_e32 v[4:5], s1
	s_movk_i32 s3, 0xffe0
	s_add_i32 s1, s8, 0x5384540f
	s_mul_hi_u32 s0, s0, 0xcd9e8d57
	v_ldexp_f64 v[4:5], v[4:5], s3
	s_xor_b32 s1, s19, s1
	s_xor_b32 s24, s1, s0
	v_mov_b32_e32 v6, 0
	s_mov_b32 s0, 0
	v_mov_b32_e32 v7, 0x3be00000
	s_mov_b32 s1, 0x3df00000
	s_mul_i32 s3, s24, 0xd2511f53
	v_fma_f64 v[4:5], v[4:5], s[0:1], v[6:7]
	s_add_i32 s10, s9, 0x96a522ad
	s_mul_hi_u32 s2, s2, 0xd2511f53
	s_xor_b32 s3, s3, s10
	s_xor_b32 s2, s3, s2
	v_cvt_f64_u32_e32 v[6:7], s2
	s_mov_b32 s3, 0x401921fb
	s_mov_b32 s2, 0x54442d18
	v_fma_f64 v[4:5], v[6:7], s[0:1], v[4:5]
	s_mov_b32 s0, 0
	s_mov_b32 s1, 0x41d00000
	v_mul_f64 v[4:5], v[4:5], s[2:3]
	v_cmp_nlt_f64_e64 s[0:1], |v[4:5]|, s[0:1]
	s_and_b64 vcc, exec, s[0:1]
	s_cbranch_vccz .LBB8_9
; %bb.8:
	v_trig_preop_f64 v[6:7], |v[4:5]|, 0
	s_mov_b32 s0, 0
	s_mov_b32 s1, 0x7b000000
	v_cmp_ge_f64_e64 vcc, |v[4:5]|, s[0:1]
	s_movk_i32 s0, 0xff80
	v_ldexp_f64 v[10:11], |v[4:5]|, s0
	v_trig_preop_f64 v[8:9], |v[4:5]|, 1
	v_and_b32_e32 v1, 0x7fffffff, v5
	s_mov_b32 s0, 0
	s_mov_b32 s1, 0x7ff00000
	;; [unrolled: 1-line block ×4, first 2 shown]
	v_cndmask_b32_e32 v11, v1, v11, vcc
	v_cndmask_b32_e32 v10, v4, v10, vcc
	v_mul_f64 v[14:15], v[6:7], v[10:11]
	v_mul_f64 v[12:13], v[8:9], v[10:11]
	v_fma_f64 v[6:7], v[6:7], v[10:11], -v[14:15]
	v_fma_f64 v[8:9], v[8:9], v[10:11], -v[12:13]
	v_add_f64 v[16:17], v[12:13], v[6:7]
	v_add_f64 v[24:25], v[16:17], -v[12:13]
	v_add_f64 v[18:19], v[14:15], v[16:17]
	v_add_f64 v[6:7], v[6:7], -v[24:25]
	v_add_f64 v[24:25], v[16:17], -v[24:25]
	v_ldexp_f64 v[20:21], v[18:19], -2
	v_add_f64 v[14:15], v[18:19], -v[14:15]
	v_add_f64 v[24:25], v[12:13], -v[24:25]
	v_trig_preop_f64 v[12:13], |v[4:5]|, 2
	v_fract_f64_e32 v[22:23], v[20:21]
	v_add_f64 v[14:15], v[16:17], -v[14:15]
	v_cmp_neq_f64_e64 vcc, |v[20:21]|, s[0:1]
	v_add_f64 v[6:7], v[6:7], v[24:25]
	v_mul_f64 v[24:25], v[12:13], v[10:11]
	v_add_f64 v[26:27], v[24:25], v[8:9]
	v_add_f64 v[28:29], v[26:27], v[6:7]
	v_add_f64 v[18:19], v[28:29], -v[26:27]
	v_add_f64 v[16:17], v[14:15], v[28:29]
	v_add_f64 v[6:7], v[6:7], -v[18:19]
	v_add_f64 v[18:19], v[28:29], -v[18:19]
	;; [unrolled: 1-line block ×5, first 2 shown]
	v_add_f64 v[6:7], v[6:7], v[18:19]
	v_add_f64 v[18:19], v[26:27], -v[24:25]
	v_add_f64 v[8:9], v[8:9], -v[18:19]
	;; [unrolled: 1-line block ×4, first 2 shown]
	v_add_f64 v[8:9], v[8:9], v[18:19]
	v_add_f64 v[6:7], v[8:9], v[6:7]
	v_fma_f64 v[8:9], v[12:13], v[10:11], -v[24:25]
	v_add_f64 v[6:7], v[8:9], v[6:7]
	v_ldexp_f64 v[8:9], v[22:23], 2
	v_add_f64 v[6:7], v[14:15], v[6:7]
	v_cndmask_b32_e32 v9, 0, v9, vcc
	v_cndmask_b32_e32 v8, 0, v8, vcc
	v_add_f64 v[10:11], v[16:17], v[8:9]
	v_cmp_gt_f64_e32 vcc, 0, v[10:11]
	s_and_b64 s[0:1], vcc, exec
	s_cselect_b32 s11, 0x40100000, 0
	v_add_f64 v[8:9], v[8:9], s[10:11]
	v_add_f64 v[10:11], v[16:17], v[8:9]
	v_cvt_i32_f64_e32 v1, v[10:11]
	v_cvt_f64_i32_e32 v[10:11], v1
	v_add_f64 v[8:9], v[8:9], -v[10:11]
	v_add_f64 v[10:11], v[16:17], v[8:9]
	v_add_f64 v[8:9], v[10:11], -v[8:9]
	v_cmp_le_f64_e32 vcc, 0.5, v[10:11]
	v_add_f64 v[8:9], v[16:17], -v[8:9]
	s_and_b64 s[0:1], vcc, exec
	s_cselect_b32 s11, 0x3ff00000, 0
	v_addc_co_u32_e64 v1, s[0:1], 0, v1, vcc
	s_mov_b32 s0, 0x33145c07
	s_mov_b32 s1, 0x3c91a626
	v_add_f64 v[6:7], v[6:7], v[8:9]
	v_add_f64 v[8:9], v[10:11], -s[10:11]
	v_add_f64 v[10:11], v[8:9], v[6:7]
	v_add_f64 v[8:9], v[10:11], -v[8:9]
	v_add_f64 v[6:7], v[6:7], -v[8:9]
	v_mul_f64 v[8:9], v[10:11], s[2:3]
	v_fma_f64 v[12:13], v[10:11], s[2:3], -v[8:9]
	v_fma_f64 v[10:11], v[10:11], s[0:1], v[12:13]
	v_fma_f64 v[10:11], v[6:7], s[2:3], v[10:11]
	v_add_f64 v[6:7], v[8:9], v[10:11]
	v_add_f64 v[8:9], v[6:7], -v[8:9]
	v_add_f64 v[8:9], v[10:11], -v[8:9]
	s_cbranch_execz .LBB8_10
	s_branch .LBB8_11
.LBB8_9:
                                        ; implicit-def: $vgpr1
                                        ; implicit-def: $vgpr6_vgpr7
                                        ; implicit-def: $vgpr8_vgpr9
.LBB8_10:
	s_mov_b32 s0, 0x6dc9c883
	s_mov_b32 s1, 0x3fe45f30
	v_mul_f64 v[6:7], |v[4:5]|, s[0:1]
	s_mov_b32 s0, 0x54442d18
	s_mov_b32 s1, 0xbff921fb
	;; [unrolled: 1-line block ×4, first 2 shown]
	v_rndne_f64_e32 v[10:11], v[6:7]
	v_fma_f64 v[6:7], v[10:11], s[0:1], |v[4:5]|
	v_mul_f64 v[8:9], v[10:11], s[2:3]
	s_mov_b32 s0, 0x252049c0
	s_mov_b32 s1, 0xb97b839a
	v_cvt_i32_f64_e32 v1, v[10:11]
	v_fma_f64 v[16:17], v[10:11], s[2:3], v[6:7]
	v_add_f64 v[12:13], v[6:7], v[8:9]
	s_mov_b32 s3, 0x3c91a626
	v_add_f64 v[14:15], v[6:7], -v[12:13]
	v_add_f64 v[12:13], v[12:13], -v[16:17]
	v_add_f64 v[6:7], v[14:15], v[8:9]
	v_fma_f64 v[8:9], v[10:11], s[2:3], v[8:9]
	v_add_f64 v[6:7], v[12:13], v[6:7]
	v_add_f64 v[6:7], v[6:7], -v[8:9]
	v_fma_f64 v[8:9], v[10:11], s[0:1], v[6:7]
	v_add_f64 v[6:7], v[16:17], v[8:9]
	v_add_f64 v[12:13], v[6:7], -v[16:17]
	v_add_f64 v[8:9], v[8:9], -v[12:13]
.LBB8_11:
	s_mul_i32 s23, s23, 0xd2511f53
	s_add_i32 s1, s9, 0xdb3d7428
	s_mul_hi_u32 s0, s24, 0xd2511f53
	s_xor_b32 s1, s23, s1
	s_xor_b32 s2, s1, s0
	s_mul_i32 s0, s2, 0xcd9e8d57
	v_cvt_f64_u32_e32 v[10:11], s0
	s_movk_i32 s0, 0xffe0
	v_mov_b32_e32 v12, 0
	v_mov_b32_e32 v13, 0x3be00000
	v_ldexp_f64 v[10:11], v[10:11], s0
	s_mov_b32 s0, 0
	s_mov_b32 s1, 0x3df00000
	s_add_i32 s3, s8, 0x8ff34781
	s_mul_i32 s22, s22, 0xcd9e8d57
	s_xor_b32 s3, s22, s3
	s_mul_hi_u32 s2, s2, 0xcd9e8d57
	s_xor_b32 s2, s3, s2
	v_fma_f64 v[10:11], v[10:11], s[0:1], v[12:13]
	v_cvt_f64_u32_e32 v[12:13], s2
	s_mov_b32 s2, 0xbf559e2b
	s_mov_b32 s3, 0x3fc3ab76
	s_load_dwordx2 s[8:9], s[4:5], 0x4
	s_mov_b32 s4, 0xf9a43bb8
	s_mov_b32 s5, 0x3de5e0b2
	v_fma_f64 v[10:11], v[12:13], s[0:1], v[10:11]
	s_mov_b32 s1, 0x3fe55555
	s_mov_b32 s0, 0x55555555
	s_waitcnt lgkmcnt(0)
	s_lshr_b32 s8, s8, 16
	s_mul_i32 s8, s8, s9
	v_frexp_mant_f64_e32 v[12:13], v[10:11]
	v_cmp_gt_f64_e32 vcc, s[0:1], v[12:13]
	v_cndmask_b32_e64 v14, 0, 1, vcc
	v_ldexp_f64 v[12:13], v[12:13], v14
	v_add_f64 v[14:15], v[12:13], 1.0
	v_add_f64 v[20:21], v[12:13], -1.0
	v_rcp_f64_e32 v[16:17], v[14:15]
	v_add_f64 v[22:23], v[14:15], -1.0
	v_add_f64 v[12:13], v[12:13], -v[22:23]
	v_fma_f64 v[18:19], -v[14:15], v[16:17], 1.0
	v_fma_f64 v[16:17], v[18:19], v[16:17], v[16:17]
	v_fma_f64 v[18:19], -v[14:15], v[16:17], 1.0
	v_fma_f64 v[16:17], v[18:19], v[16:17], v[16:17]
	v_mul_f64 v[18:19], v[20:21], v[16:17]
	v_mul_f64 v[24:25], v[14:15], v[18:19]
	v_fma_f64 v[14:15], v[18:19], v[14:15], -v[24:25]
	v_fma_f64 v[12:13], v[18:19], v[12:13], v[14:15]
	v_add_f64 v[14:15], v[24:25], v[12:13]
	v_add_f64 v[22:23], v[20:21], -v[14:15]
	v_add_f64 v[24:25], v[14:15], -v[24:25]
	;; [unrolled: 1-line block ×5, first 2 shown]
	v_mov_b32_e32 v20, 0x6b47b09a
	v_mov_b32_e32 v21, 0x3fc38538
	v_add_f64 v[12:13], v[12:13], v[14:15]
	v_add_f64 v[12:13], v[22:23], v[12:13]
	v_mul_f64 v[12:13], v[16:17], v[12:13]
	v_add_f64 v[14:15], v[18:19], v[12:13]
	v_mul_f64 v[16:17], v[14:15], v[14:15]
	v_fma_f64 v[20:21], v[16:17], s[2:3], v[20:21]
	s_mov_b32 s2, 0xd7f4df2e
	s_mov_b32 s3, 0x3fc7474d
	v_mul_f64 v[22:23], v[14:15], v[16:17]
	v_fma_f64 v[20:21], v[16:17], v[20:21], s[2:3]
	s_mov_b32 s2, 0x16291751
	s_mov_b32 s3, 0x3fcc71c0
	v_fma_f64 v[20:21], v[16:17], v[20:21], s[2:3]
	s_mov_b32 s2, 0x9b27acf1
	s_mov_b32 s3, 0x3fd24924
	;; [unrolled: 3-line block ×4, first 2 shown]
	s_movk_i32 s1, 0x204
	v_fma_f64 v[16:17], v[16:17], v[20:21], s[2:3]
	v_ldexp_f64 v[20:21], v[14:15], 1
	v_add_f64 v[14:15], v[14:15], -v[18:19]
	s_mov_b32 s2, 0xfefa39ef
	s_mov_b32 s3, 0x3fe62e42
	v_mul_f64 v[16:17], v[22:23], v[16:17]
	v_frexp_exp_i32_f64_e32 v22, v[10:11]
	v_add_f64 v[12:13], v[12:13], -v[14:15]
	v_add_f64 v[18:19], v[20:21], v[16:17]
	v_subbrev_co_u32_e32 v22, vcc, 0, v22, vcc
	v_cvt_f64_i32_e32 v[22:23], v22
	v_ldexp_f64 v[12:13], v[12:13], 1
	v_cmp_class_f64_e64 vcc, v[10:11], s1
	v_mul_f64 v[24:25], v[22:23], s[2:3]
	v_add_f64 v[14:15], v[18:19], -v[20:21]
	v_fma_f64 v[20:21], v[22:23], s[2:3], -v[24:25]
	v_add_f64 v[14:15], v[16:17], -v[14:15]
	s_mov_b32 s2, 0x3b39803f
	s_mov_b32 s3, 0x3c7abc9e
	v_fma_f64 v[16:17], v[22:23], s[2:3], v[20:21]
	v_add_f64 v[12:13], v[12:13], v[14:15]
	s_mov_b32 s2, 0
	s_brev_b32 s3, 8
	v_add_f64 v[14:15], v[24:25], v[16:17]
	v_add_f64 v[20:21], v[18:19], v[12:13]
	v_add_f64 v[24:25], v[14:15], -v[24:25]
	v_add_f64 v[22:23], v[14:15], v[20:21]
	v_add_f64 v[18:19], v[20:21], -v[18:19]
	v_add_f64 v[16:17], v[16:17], -v[24:25]
	;; [unrolled: 1-line block ×6, first 2 shown]
	v_add_f64 v[20:21], v[16:17], v[12:13]
	v_mov_b32_e32 v26, 0x9037ab78
	v_mov_b32_e32 v27, 0x3e21eeb6
	v_add_f64 v[14:15], v[14:15], -v[28:29]
	v_add_f64 v[14:15], v[18:19], v[14:15]
	v_add_f64 v[18:19], v[20:21], -v[16:17]
	v_add_f64 v[14:15], v[20:21], v[14:15]
	v_add_f64 v[20:21], v[20:21], -v[18:19]
	v_add_f64 v[12:13], v[12:13], -v[18:19]
	v_add_f64 v[24:25], v[22:23], v[14:15]
	v_add_f64 v[16:17], v[16:17], -v[20:21]
	;; [unrolled: 3-line block ×3, first 2 shown]
	v_mov_b32_e32 v18, 0xb42fdfa7
	v_mov_b32_e32 v19, 0xbe5ae600
	v_add_f64 v[12:13], v[12:13], v[14:15]
	v_mul_f64 v[14:15], v[6:7], v[6:7]
	v_add_f64 v[12:13], v[24:25], v[12:13]
	v_fma_f64 v[18:19], v[14:15], s[4:5], v[18:19]
	v_mul_f64 v[20:21], v[14:15], 0.5
	v_mul_f64 v[24:25], v[8:9], 0.5
	v_mul_f64 v[30:31], v[6:7], -v[14:15]
	v_cndmask_b32_e32 v13, v13, v11, vcc
	v_cndmask_b32_e32 v12, v12, v10, vcc
	v_mul_f64 v[16:17], v[12:13], -2.0
	v_cmp_ngt_f64_e32 vcc, 0, v[10:11]
	v_mov_b32_e32 v12, 0x7ff80000
	v_mov_b32_e32 v13, 0x7ff00000
	v_cndmask_b32_e32 v17, v12, v17, vcc
	v_cmp_nge_f64_e32 vcc, 0, v[10:11]
	v_cndmask_b32_e32 v16, 0, v16, vcc
	v_cmp_neq_f64_e32 vcc, 0, v[10:11]
	v_cndmask_b32_e32 v17, v13, v17, vcc
	v_cmp_gt_f64_e32 vcc, s[2:3], v[16:17]
	s_lshl_b64 s[2:3], s[6:7], 1
	s_mov_b32 s6, 0x19e83e5c
	s_mov_b32 s7, 0xbf2a01a0
	s_and_b64 s[4:5], vcc, exec
	s_cselect_b32 s1, 0x100, 0
	v_ldexp_f64 v[10:11], v[16:17], s1
	s_mov_b32 s4, 0x796cde01
	s_mov_b32 s5, 0x3ec71de3
	v_add_f64 v[16:17], -v[20:21], 1.0
	v_fma_f64 v[18:19], v[14:15], v[18:19], s[4:5]
	s_mov_b32 s4, 0x11110bb3
	s_mov_b32 s5, 0x3f811111
	;; [unrolled: 1-line block ×3, first 2 shown]
	v_rsq_f64_e32 v[22:23], v[10:11]
	v_add_f64 v[28:29], -v[16:17], 1.0
	v_fma_f64 v[18:19], v[14:15], v[18:19], s[6:7]
	s_mov_b32 s6, 0x46cc5e42
	s_mov_b32 s7, 0xbda907db
	v_fma_f64 v[26:27], v[14:15], s[6:7], v[26:27]
	s_mov_b32 s6, 0xa17f65f6
	s_mov_b32 s7, 0xbe927e4f
	v_add_f64 v[20:21], v[28:29], -v[20:21]
	v_fma_f64 v[18:19], v[14:15], v[18:19], s[4:5]
	s_mov_b32 s4, 0x19f4ec90
	s_mov_b32 s5, 0x3efa01a0
	v_fma_f64 v[26:27], v[14:15], v[26:27], s[6:7]
	v_mul_f64 v[28:29], v[10:11], v[22:23]
	v_mul_f64 v[22:23], v[22:23], 0.5
	v_fma_f64 v[20:21], v[6:7], -v[8:9], v[20:21]
	v_fma_f64 v[18:19], v[30:31], v[18:19], v[24:25]
	v_fma_f64 v[26:27], v[14:15], v[26:27], s[4:5]
	s_mov_b32 s4, 0x16c16967
	v_fma_f64 v[24:25], -v[22:23], v[28:29], 0.5
	s_mov_b32 s5, 0xbf56c16c
	v_fma_f64 v[8:9], v[14:15], v[18:19], -v[8:9]
	v_mul_f64 v[18:19], v[14:15], v[14:15]
	v_fma_f64 v[26:27], v[14:15], v[26:27], s[4:5]
	s_cselect_b32 s4, 0xffffff80, 0
	v_fma_f64 v[28:29], v[28:29], v[24:25], v[28:29]
	v_fma_f64 v[22:23], v[22:23], v[24:25], v[22:23]
	;; [unrolled: 1-line block ×3, first 2 shown]
	s_mov_b32 s1, 0xbfc55555
	v_fma_f64 v[24:25], -v[28:29], v[28:29], v[10:11]
	v_fma_f64 v[8:9], v[30:31], s[0:1], v[8:9]
	v_lshlrev_b32_e32 v15, 30, v1
	s_movk_i32 s0, 0x1f8
	v_cmp_class_f64_e64 s[0:1], v[4:5], s0
	v_fma_f64 v[13:14], v[18:19], v[13:14], v[20:21]
	v_and_b32_e32 v21, 1, v1
	v_fma_f64 v[24:25], v[24:25], v[22:23], v[28:29]
	v_add_f64 v[6:7], v[6:7], -v[8:9]
	v_xor_b32_e32 v1, v15, v5
	v_and_b32_e32 v8, 0x80000000, v15
	v_and_b32_e32 v9, 0x80000000, v1
	v_mul_lo_u32 v15, s8, v0
	v_add_f64 v[13:14], v[16:17], v[13:14]
	v_mov_b32_e32 v20, 0x260
	v_fma_f64 v[18:19], -v[24:25], v[24:25], v[10:11]
	v_cmp_eq_u32_e32 vcc, 0, v21
	v_xor_b32_e32 v4, 0x80000000, v7
	v_cndmask_b32_e32 v16, v13, v6, vcc
	v_cndmask_b32_e32 v6, v6, v13, vcc
	v_fma_f64 v[0:1], v[18:19], v[22:23], v[24:25]
	v_cndmask_b32_e32 v5, v14, v7, vcc
	v_cndmask_b32_e32 v7, v4, v14, vcc
	v_cmp_class_f64_e32 vcc, v[10:11], v20
	v_xor_b32_e32 v5, v5, v9
	v_xor_b32_e32 v8, v7, v8
	v_cndmask_b32_e64 v4, 0, v6, s[0:1]
	v_cndmask_b32_e64 v6, 0, v16, s[0:1]
	v_ldexp_f64 v[0:1], v[0:1], s4
	v_cndmask_b32_e64 v7, v12, v5, s[0:1]
	v_cndmask_b32_e64 v5, v12, v8, s[0:1]
	s_sub_u32 s4, s20, s2
	s_subb_u32 s5, s21, s3
	v_cmp_lt_i64_e64 s[6:7], s[4:5], 1
	s_mov_b64 s[0:1], 0
	v_cndmask_b32_e32 v1, v1, v11, vcc
	v_cndmask_b32_e32 v0, v0, v10, vcc
	v_mul_f64 v[4:5], v[0:1], v[4:5]
	v_mul_f64 v[6:7], v[0:1], v[6:7]
	v_mad_u32_u24 v0, v3, s9, v15
	v_add_lshl_u32 v0, v0, v2, 4
	s_and_b64 vcc, exec, s[6:7]
	ds_write_b128 v0, v[4:7]
	s_cbranch_vccnz .LBB8_14
; %bb.12:
	s_lshl_b64 s[2:3], s[2:3], 3
	s_add_u32 s2, s16, s2
	s_addc_u32 s3, s17, s3
	v_mov_b32_e32 v1, 0
.LBB8_13:                               ; =>This Inner Loop Header: Depth=1
	ds_read_b64 v[2:3], v0
	v_mov_b32_e32 v4, s12
	v_mov_b32_e32 v5, s13
	s_add_u32 s0, s0, 1
	s_addc_u32 s1, s1, 0
	s_waitcnt lgkmcnt(0)
	v_fma_f64 v[2:3], s[14:15], v[2:3], v[4:5]
	v_mov_b32_e32 v5, s1
	v_mov_b32_e32 v4, s0
	v_cmp_gt_i64_e32 vcc, s[4:5], v[4:5]
	v_add_u32_e32 v0, 8, v0
	global_store_dwordx2 v1, v[2:3], s[2:3]
	s_add_u32 s2, s2, 8
	s_addc_u32 s3, s3, 0
	s_cbranch_vccnz .LBB8_13
.LBB8_14:
	s_endpgm
	.section	.rodata,"a",@progbits
	.p2align	6, 0x0
	.amdhsa_kernel _ZN2at6native12_GLOBAL__N_124philox_single_key_kernelIdZZZZNS0_20_philox_normal_cuda_ERNS_6TensorERKS3_ddENKUlvE_clEvENKUlvE_clEvENKUlvE_clEvEUlmmE_ZZZNS0_20_philox_normal_cuda_ES4_S6_ddENKS7_clEvENKS8_clEvEUldE_EEvPT_PKmlT0_T1_
		.amdhsa_group_segment_fixed_size 16384
		.amdhsa_private_segment_fixed_size 0
		.amdhsa_kernarg_size 304
		.amdhsa_user_sgpr_count 8
		.amdhsa_user_sgpr_private_segment_buffer 1
		.amdhsa_user_sgpr_dispatch_ptr 1
		.amdhsa_user_sgpr_queue_ptr 0
		.amdhsa_user_sgpr_kernarg_segment_ptr 1
		.amdhsa_user_sgpr_dispatch_id 0
		.amdhsa_user_sgpr_flat_scratch_init 0
		.amdhsa_user_sgpr_private_segment_size 0
		.amdhsa_uses_dynamic_stack 0
		.amdhsa_system_sgpr_private_segment_wavefront_offset 0
		.amdhsa_system_sgpr_workgroup_id_x 1
		.amdhsa_system_sgpr_workgroup_id_y 0
		.amdhsa_system_sgpr_workgroup_id_z 0
		.amdhsa_system_sgpr_workgroup_info 0
		.amdhsa_system_vgpr_workitem_id 2
		.amdhsa_next_free_vgpr 32
		.amdhsa_next_free_sgpr 26
		.amdhsa_reserve_vcc 1
		.amdhsa_reserve_flat_scratch 0
		.amdhsa_float_round_mode_32 0
		.amdhsa_float_round_mode_16_64 0
		.amdhsa_float_denorm_mode_32 3
		.amdhsa_float_denorm_mode_16_64 3
		.amdhsa_dx10_clamp 1
		.amdhsa_ieee_mode 1
		.amdhsa_fp16_overflow 0
		.amdhsa_exception_fp_ieee_invalid_op 0
		.amdhsa_exception_fp_denorm_src 0
		.amdhsa_exception_fp_ieee_div_zero 0
		.amdhsa_exception_fp_ieee_overflow 0
		.amdhsa_exception_fp_ieee_underflow 0
		.amdhsa_exception_fp_ieee_inexact 0
		.amdhsa_exception_int_div_zero 0
	.end_amdhsa_kernel
	.section	.text._ZN2at6native12_GLOBAL__N_124philox_single_key_kernelIdZZZZNS0_20_philox_normal_cuda_ERNS_6TensorERKS3_ddENKUlvE_clEvENKUlvE_clEvENKUlvE_clEvEUlmmE_ZZZNS0_20_philox_normal_cuda_ES4_S6_ddENKS7_clEvENKS8_clEvEUldE_EEvPT_PKmlT0_T1_,"axG",@progbits,_ZN2at6native12_GLOBAL__N_124philox_single_key_kernelIdZZZZNS0_20_philox_normal_cuda_ERNS_6TensorERKS3_ddENKUlvE_clEvENKUlvE_clEvENKUlvE_clEvEUlmmE_ZZZNS0_20_philox_normal_cuda_ES4_S6_ddENKS7_clEvENKS8_clEvEUldE_EEvPT_PKmlT0_T1_,comdat
.Lfunc_end8:
	.size	_ZN2at6native12_GLOBAL__N_124philox_single_key_kernelIdZZZZNS0_20_philox_normal_cuda_ERNS_6TensorERKS3_ddENKUlvE_clEvENKUlvE_clEvENKUlvE_clEvEUlmmE_ZZZNS0_20_philox_normal_cuda_ES4_S6_ddENKS7_clEvENKS8_clEvEUldE_EEvPT_PKmlT0_T1_, .Lfunc_end8-_ZN2at6native12_GLOBAL__N_124philox_single_key_kernelIdZZZZNS0_20_philox_normal_cuda_ERNS_6TensorERKS3_ddENKUlvE_clEvENKUlvE_clEvENKUlvE_clEvEUlmmE_ZZZNS0_20_philox_normal_cuda_ES4_S6_ddENKS7_clEvENKS8_clEvEUldE_EEvPT_PKmlT0_T1_
                                        ; -- End function
	.set _ZN2at6native12_GLOBAL__N_124philox_single_key_kernelIdZZZZNS0_20_philox_normal_cuda_ERNS_6TensorERKS3_ddENKUlvE_clEvENKUlvE_clEvENKUlvE_clEvEUlmmE_ZZZNS0_20_philox_normal_cuda_ES4_S6_ddENKS7_clEvENKS8_clEvEUldE_EEvPT_PKmlT0_T1_.num_vgpr, 32
	.set _ZN2at6native12_GLOBAL__N_124philox_single_key_kernelIdZZZZNS0_20_philox_normal_cuda_ERNS_6TensorERKS3_ddENKUlvE_clEvENKUlvE_clEvENKUlvE_clEvEUlmmE_ZZZNS0_20_philox_normal_cuda_ES4_S6_ddENKS7_clEvENKS8_clEvEUldE_EEvPT_PKmlT0_T1_.num_agpr, 0
	.set _ZN2at6native12_GLOBAL__N_124philox_single_key_kernelIdZZZZNS0_20_philox_normal_cuda_ERNS_6TensorERKS3_ddENKUlvE_clEvENKUlvE_clEvENKUlvE_clEvEUlmmE_ZZZNS0_20_philox_normal_cuda_ES4_S6_ddENKS7_clEvENKS8_clEvEUldE_EEvPT_PKmlT0_T1_.numbered_sgpr, 26
	.set _ZN2at6native12_GLOBAL__N_124philox_single_key_kernelIdZZZZNS0_20_philox_normal_cuda_ERNS_6TensorERKS3_ddENKUlvE_clEvENKUlvE_clEvENKUlvE_clEvEUlmmE_ZZZNS0_20_philox_normal_cuda_ES4_S6_ddENKS7_clEvENKS8_clEvEUldE_EEvPT_PKmlT0_T1_.num_named_barrier, 0
	.set _ZN2at6native12_GLOBAL__N_124philox_single_key_kernelIdZZZZNS0_20_philox_normal_cuda_ERNS_6TensorERKS3_ddENKUlvE_clEvENKUlvE_clEvENKUlvE_clEvEUlmmE_ZZZNS0_20_philox_normal_cuda_ES4_S6_ddENKS7_clEvENKS8_clEvEUldE_EEvPT_PKmlT0_T1_.private_seg_size, 0
	.set _ZN2at6native12_GLOBAL__N_124philox_single_key_kernelIdZZZZNS0_20_philox_normal_cuda_ERNS_6TensorERKS3_ddENKUlvE_clEvENKUlvE_clEvENKUlvE_clEvEUlmmE_ZZZNS0_20_philox_normal_cuda_ES4_S6_ddENKS7_clEvENKS8_clEvEUldE_EEvPT_PKmlT0_T1_.uses_vcc, 1
	.set _ZN2at6native12_GLOBAL__N_124philox_single_key_kernelIdZZZZNS0_20_philox_normal_cuda_ERNS_6TensorERKS3_ddENKUlvE_clEvENKUlvE_clEvENKUlvE_clEvEUlmmE_ZZZNS0_20_philox_normal_cuda_ES4_S6_ddENKS7_clEvENKS8_clEvEUldE_EEvPT_PKmlT0_T1_.uses_flat_scratch, 0
	.set _ZN2at6native12_GLOBAL__N_124philox_single_key_kernelIdZZZZNS0_20_philox_normal_cuda_ERNS_6TensorERKS3_ddENKUlvE_clEvENKUlvE_clEvENKUlvE_clEvEUlmmE_ZZZNS0_20_philox_normal_cuda_ES4_S6_ddENKS7_clEvENKS8_clEvEUldE_EEvPT_PKmlT0_T1_.has_dyn_sized_stack, 0
	.set _ZN2at6native12_GLOBAL__N_124philox_single_key_kernelIdZZZZNS0_20_philox_normal_cuda_ERNS_6TensorERKS3_ddENKUlvE_clEvENKUlvE_clEvENKUlvE_clEvEUlmmE_ZZZNS0_20_philox_normal_cuda_ES4_S6_ddENKS7_clEvENKS8_clEvEUldE_EEvPT_PKmlT0_T1_.has_recursion, 0
	.set _ZN2at6native12_GLOBAL__N_124philox_single_key_kernelIdZZZZNS0_20_philox_normal_cuda_ERNS_6TensorERKS3_ddENKUlvE_clEvENKUlvE_clEvENKUlvE_clEvEUlmmE_ZZZNS0_20_philox_normal_cuda_ES4_S6_ddENKS7_clEvENKS8_clEvEUldE_EEvPT_PKmlT0_T1_.has_indirect_call, 0
	.section	.AMDGPU.csdata,"",@progbits
; Kernel info:
; codeLenInByte = 6480
; TotalNumSgprs: 30
; NumVgprs: 32
; ScratchSize: 0
; MemoryBound: 0
; FloatMode: 240
; IeeeMode: 1
; LDSByteSize: 16384 bytes/workgroup (compile time only)
; SGPRBlocks: 3
; VGPRBlocks: 7
; NumSGPRsForWavesPerEU: 30
; NumVGPRsForWavesPerEU: 32
; Occupancy: 8
; WaveLimiterHint : 0
; COMPUTE_PGM_RSRC2:SCRATCH_EN: 0
; COMPUTE_PGM_RSRC2:USER_SGPR: 8
; COMPUTE_PGM_RSRC2:TRAP_HANDLER: 0
; COMPUTE_PGM_RSRC2:TGID_X_EN: 1
; COMPUTE_PGM_RSRC2:TGID_Y_EN: 0
; COMPUTE_PGM_RSRC2:TGID_Z_EN: 0
; COMPUTE_PGM_RSRC2:TIDIG_COMP_CNT: 2
	.section	.text._ZN2at6native12_GLOBAL__N_123philox_multi_key_kernelIdZZZZNS0_20_philox_normal_cuda_ERNS_6TensorERKS3_ddENKUlvE_clEvENKUlvE_clEvENKUlvE_clEvEUlmmE_ZZZNS0_20_philox_normal_cuda_ES4_S6_ddENKS7_clEvENKS8_clEvEUldE_EEvPT_PKmllT0_T1_16OffsetCalculatorILi1EjLb0EE,"axG",@progbits,_ZN2at6native12_GLOBAL__N_123philox_multi_key_kernelIdZZZZNS0_20_philox_normal_cuda_ERNS_6TensorERKS3_ddENKUlvE_clEvENKUlvE_clEvENKUlvE_clEvEUlmmE_ZZZNS0_20_philox_normal_cuda_ES4_S6_ddENKS7_clEvENKS8_clEvEUldE_EEvPT_PKmllT0_T1_16OffsetCalculatorILi1EjLb0EE,comdat
	.globl	_ZN2at6native12_GLOBAL__N_123philox_multi_key_kernelIdZZZZNS0_20_philox_normal_cuda_ERNS_6TensorERKS3_ddENKUlvE_clEvENKUlvE_clEvENKUlvE_clEvEUlmmE_ZZZNS0_20_philox_normal_cuda_ES4_S6_ddENKS7_clEvENKS8_clEvEUldE_EEvPT_PKmllT0_T1_16OffsetCalculatorILi1EjLb0EE ; -- Begin function _ZN2at6native12_GLOBAL__N_123philox_multi_key_kernelIdZZZZNS0_20_philox_normal_cuda_ERNS_6TensorERKS3_ddENKUlvE_clEvENKUlvE_clEvENKUlvE_clEvEUlmmE_ZZZNS0_20_philox_normal_cuda_ES4_S6_ddENKS7_clEvENKS8_clEvEUldE_EEvPT_PKmllT0_T1_16OffsetCalculatorILi1EjLb0EE
	.p2align	8
	.type	_ZN2at6native12_GLOBAL__N_123philox_multi_key_kernelIdZZZZNS0_20_philox_normal_cuda_ERNS_6TensorERKS3_ddENKUlvE_clEvENKUlvE_clEvENKUlvE_clEvEUlmmE_ZZZNS0_20_philox_normal_cuda_ES4_S6_ddENKS7_clEvENKS8_clEvEUldE_EEvPT_PKmllT0_T1_16OffsetCalculatorILi1EjLb0EE,@function
_ZN2at6native12_GLOBAL__N_123philox_multi_key_kernelIdZZZZNS0_20_philox_normal_cuda_ERNS_6TensorERKS3_ddENKUlvE_clEvENKUlvE_clEvENKUlvE_clEvEUlmmE_ZZZNS0_20_philox_normal_cuda_ES4_S6_ddENKS7_clEvENKS8_clEvEUldE_EEvPT_PKmllT0_T1_16OffsetCalculatorILi1EjLb0EE: ; @_ZN2at6native12_GLOBAL__N_123philox_multi_key_kernelIdZZZZNS0_20_philox_normal_cuda_ERNS_6TensorERKS3_ddENKUlvE_clEvENKUlvE_clEvENKUlvE_clEvEUlmmE_ZZZNS0_20_philox_normal_cuda_ES4_S6_ddENKS7_clEvENKS8_clEvEUldE_EEvPT_PKmllT0_T1_16OffsetCalculatorILi1EjLb0EE
; %bb.0:
	s_load_dwordx4 s[16:19], s[4:5], 0x10
	s_load_dword s2, s[4:5], 0x14c
	v_mov_b32_e32 v4, 0
	v_mov_b32_e32 v1, v4
	;; [unrolled: 1-line block ×3, first 2 shown]
	s_waitcnt lgkmcnt(0)
	s_add_u32 s0, s18, 1
	s_addc_u32 s1, s19, 0
	s_lshr_b32 s3, s1, 31
	s_add_u32 s0, s0, s3
	s_addc_u32 s1, s1, 0
	s_ashr_i64 s[24:25], s[0:1], 1
	s_mul_i32 s0, s24, s17
	s_mul_hi_u32 s1, s24, s16
	s_add_i32 s3, s1, s0
	s_and_b32 s0, s2, 0xffff
	v_mad_u64_u32 v[2:3], s[0:1], s0, v2, v[0:1]
	s_mul_i32 s0, s25, s16
	s_add_i32 s1, s3, s0
	s_mul_i32 s0, s24, s16
	v_cmp_gt_i64_e32 vcc, s[0:1], v[2:3]
	s_and_saveexec_b64 s[0:1], vcc
	s_cbranch_execz .LBB9_27
; %bb.1:
	v_or_b32_e32 v5, s25, v3
	v_cmp_ne_u64_e32 vcc, 0, v[4:5]
                                        ; implicit-def: $vgpr0_vgpr1
	s_and_saveexec_b64 s[0:1], vcc
	s_xor_b64 s[2:3], exec, s[0:1]
	s_cbranch_execz .LBB9_3
; %bb.2:
	s_ashr_i32 s6, s25, 31
	s_add_u32 s0, s24, s6
	s_mov_b32 s7, s6
	s_addc_u32 s1, s25, s6
	s_xor_b64 s[8:9], s[0:1], s[6:7]
	v_cvt_f32_u32_e32 v0, s8
	v_cvt_f32_u32_e32 v1, s9
	s_sub_u32 s7, 0, s8
	s_subb_u32 s10, 0, s9
	v_ashrrev_i32_e32 v6, 31, v3
	v_madmk_f32 v0, v1, 0x4f800000, v0
	v_rcp_f32_e32 v0, v0
	v_mul_f32_e32 v0, 0x5f7ffffc, v0
	v_mul_f32_e32 v1, 0x2f800000, v0
	v_trunc_f32_e32 v1, v1
	v_madmk_f32 v0, v1, 0xcf800000, v0
	v_cvt_u32_f32_e32 v1, v1
	v_cvt_u32_f32_e32 v0, v0
	v_readfirstlane_b32 s11, v1
	v_readfirstlane_b32 s0, v0
	s_mul_i32 s1, s7, s11
	s_mul_hi_u32 s13, s7, s0
	s_mul_i32 s12, s10, s0
	s_add_i32 s1, s13, s1
	s_add_i32 s1, s1, s12
	s_mul_i32 s14, s7, s0
	s_mul_i32 s13, s0, s1
	s_mul_hi_u32 s15, s0, s14
	s_mul_hi_u32 s12, s0, s1
	s_add_u32 s13, s15, s13
	s_addc_u32 s12, 0, s12
	s_mul_hi_u32 s16, s11, s14
	s_mul_i32 s14, s11, s14
	s_add_u32 s13, s13, s14
	s_mul_hi_u32 s15, s11, s1
	s_addc_u32 s12, s12, s16
	s_addc_u32 s13, s15, 0
	s_mul_i32 s1, s11, s1
	s_add_u32 s1, s12, s1
	s_addc_u32 s12, 0, s13
	s_add_u32 s13, s0, s1
	s_cselect_b64 s[0:1], -1, 0
	s_cmp_lg_u64 s[0:1], 0
	s_addc_u32 s11, s11, s12
	s_mul_i32 s0, s7, s11
	s_mul_hi_u32 s1, s7, s13
	s_add_i32 s0, s1, s0
	s_mul_i32 s10, s10, s13
	s_add_i32 s0, s0, s10
	s_mul_i32 s7, s7, s13
	s_mul_hi_u32 s10, s11, s7
	s_mul_i32 s12, s11, s7
	s_mul_i32 s15, s13, s0
	s_mul_hi_u32 s7, s13, s7
	s_mul_hi_u32 s14, s13, s0
	s_add_u32 s7, s7, s15
	s_addc_u32 s14, 0, s14
	s_add_u32 s7, s7, s12
	s_mul_hi_u32 s1, s11, s0
	s_addc_u32 s7, s14, s10
	s_addc_u32 s1, s1, 0
	s_mul_i32 s0, s11, s0
	s_add_u32 s0, s7, s0
	s_addc_u32 s7, 0, s1
	s_add_u32 s10, s13, s0
	s_cselect_b64 s[0:1], -1, 0
	s_cmp_lg_u64 s[0:1], 0
	v_add_co_u32_e32 v0, vcc, v2, v6
	s_addc_u32 s7, s11, s7
	v_xor_b32_e32 v7, v0, v6
	v_mad_u64_u32 v[0:1], s[0:1], v7, s7, 0
	v_mul_hi_u32 v5, v7, s10
	v_addc_co_u32_e32 v4, vcc, v3, v6, vcc
	v_xor_b32_e32 v8, v4, v6
	v_add_co_u32_e32 v9, vcc, v5, v0
	v_addc_co_u32_e32 v10, vcc, 0, v1, vcc
	v_mad_u64_u32 v[0:1], s[0:1], v8, s10, 0
	v_mad_u64_u32 v[4:5], s[0:1], v8, s7, 0
	v_add_co_u32_e32 v0, vcc, v9, v0
	v_addc_co_u32_e32 v0, vcc, v10, v1, vcc
	v_addc_co_u32_e32 v1, vcc, 0, v5, vcc
	v_add_co_u32_e32 v4, vcc, v0, v4
	v_addc_co_u32_e32 v5, vcc, 0, v1, vcc
	v_mul_lo_u32 v9, s9, v4
	v_mul_lo_u32 v10, s8, v5
	v_mad_u64_u32 v[0:1], s[0:1], s8, v4, 0
	v_add3_u32 v1, v1, v10, v9
	v_sub_u32_e32 v9, v8, v1
	v_mov_b32_e32 v10, s9
	v_sub_co_u32_e32 v0, vcc, v7, v0
	v_subb_co_u32_e64 v7, s[0:1], v9, v10, vcc
	v_subrev_co_u32_e64 v9, s[0:1], s8, v0
	v_subbrev_co_u32_e64 v7, s[0:1], 0, v7, s[0:1]
	v_cmp_le_u32_e64 s[0:1], s9, v7
	v_cndmask_b32_e64 v10, 0, -1, s[0:1]
	v_cmp_le_u32_e64 s[0:1], s8, v9
	v_cndmask_b32_e64 v9, 0, -1, s[0:1]
	v_cmp_eq_u32_e64 s[0:1], s9, v7
	v_cndmask_b32_e64 v7, v10, v9, s[0:1]
	v_add_co_u32_e64 v9, s[0:1], 2, v4
	v_subb_co_u32_e32 v1, vcc, v8, v1, vcc
	v_addc_co_u32_e64 v10, s[0:1], 0, v5, s[0:1]
	v_cmp_le_u32_e32 vcc, s9, v1
	v_add_co_u32_e64 v11, s[0:1], 1, v4
	v_cndmask_b32_e64 v8, 0, -1, vcc
	v_cmp_le_u32_e32 vcc, s8, v0
	v_addc_co_u32_e64 v12, s[0:1], 0, v5, s[0:1]
	v_cndmask_b32_e64 v0, 0, -1, vcc
	v_cmp_eq_u32_e32 vcc, s9, v1
	v_cmp_ne_u32_e64 s[0:1], 0, v7
	v_cndmask_b32_e32 v0, v8, v0, vcc
	v_cndmask_b32_e64 v7, v12, v10, s[0:1]
	v_cmp_ne_u32_e32 vcc, 0, v0
	v_cndmask_b32_e64 v1, v11, v9, s[0:1]
	v_cndmask_b32_e32 v0, v5, v7, vcc
	v_cndmask_b32_e32 v1, v4, v1, vcc
	v_xor_b32_e32 v4, s6, v6
	v_xor_b32_e32 v5, v0, v4
	;; [unrolled: 1-line block ×3, first 2 shown]
	v_sub_co_u32_e32 v0, vcc, v0, v4
	v_subb_co_u32_e32 v1, vcc, v5, v4, vcc
.LBB9_3:
	s_andn2_saveexec_b64 s[0:1], s[2:3]
	s_cbranch_execz .LBB9_5
; %bb.4:
	v_cvt_f32_u32_e32 v0, s24
	s_sub_i32 s2, 0, s24
	v_rcp_iflag_f32_e32 v0, v0
	v_mul_f32_e32 v0, 0x4f7ffffe, v0
	v_cvt_u32_f32_e32 v0, v0
	v_mul_lo_u32 v1, s2, v0
	v_mul_hi_u32 v1, v0, v1
	v_add_u32_e32 v0, v0, v1
	v_mul_hi_u32 v0, v2, v0
	v_mul_lo_u32 v1, v0, s24
	v_add_u32_e32 v4, 1, v0
	v_sub_u32_e32 v1, v2, v1
	v_subrev_u32_e32 v5, s24, v1
	v_cmp_le_u32_e32 vcc, s24, v1
	v_cndmask_b32_e32 v1, v1, v5, vcc
	v_cndmask_b32_e32 v0, v0, v4, vcc
	v_add_u32_e32 v4, 1, v0
	v_cmp_le_u32_e32 vcc, s24, v1
	v_cndmask_b32_e32 v0, v0, v4, vcc
	v_mov_b32_e32 v1, 0
.LBB9_5:
	s_or_b64 exec, exec, s[0:1]
	s_load_dword s30, s[4:5], 0x38
	s_load_dwordx2 s[6:7], s[4:5], 0x8
	s_add_u32 s16, s4, 56
	s_addc_u32 s17, s5, 0
	s_waitcnt lgkmcnt(0)
	s_add_i32 s0, s30, -1
	s_cmp_lt_u32 s0, 2
	s_cbranch_scc1 .LBB9_11
; %bb.6:
	s_cmp_lg_u32 s30, 0
	s_mov_b32 s31, 0
	s_cbranch_scc0 .LBB9_12
; %bb.7:
	s_min_u32 s33, s0, 15
	s_add_i32 s33, s33, 1
	s_cmp_eq_u32 s0, 2
	s_cbranch_scc1 .LBB9_13
; %bb.8:
	s_and_b32 s31, s33, 28
	s_add_u32 s26, s16, 0xc4
	s_addc_u32 s27, s17, 0
	s_mov_b32 s34, 0
	v_mov_b32_e32 v11, 0
	s_mov_b64 s[28:29], s[16:17]
	v_mov_b32_e32 v4, v0
.LBB9_9:                                ; =>This Inner Loop Header: Depth=1
	s_load_dwordx8 s[8:15], s[28:29], 0x4
	s_load_dwordx4 s[0:3], s[28:29], 0x24
	s_load_dwordx4 s[20:23], s[26:27], 0x0
	s_add_u32 s28, s28, 48
	s_addc_u32 s29, s29, 0
	s_waitcnt lgkmcnt(0)
	v_mul_hi_u32 v5, s9, v4
	s_add_i32 s34, s34, 4
	s_add_u32 s26, s26, 16
	s_addc_u32 s27, s27, 0
	v_add_u32_e32 v5, v4, v5
	v_lshrrev_b32_e32 v5, s10, v5
	v_mul_lo_u32 v6, v5, s8
	v_mul_hi_u32 v7, s12, v5
	s_cmp_lg_u32 s31, s34
	v_sub_u32_e32 v4, v4, v6
	v_add_u32_e32 v6, v5, v7
	v_lshrrev_b32_e32 v6, s13, v6
	v_mul_lo_u32 v7, v4, s20
	v_mul_hi_u32 v4, s15, v6
	v_mul_lo_u32 v9, v6, s11
	v_add_u32_e32 v4, v6, v4
	v_lshrrev_b32_e32 v8, s0, v4
	v_mul_hi_u32 v4, s2, v8
	v_sub_u32_e32 v5, v5, v9
	v_mul_lo_u32 v9, v8, s14
	v_mul_lo_u32 v5, v5, s21
	v_add_u32_e32 v4, v8, v4
	v_lshrrev_b32_e32 v4, s3, v4
	v_mul_lo_u32 v10, v4, s1
	v_sub_u32_e32 v6, v6, v9
	v_mul_lo_u32 v6, v6, s22
	v_add3_u32 v5, v7, v11, v5
	v_sub_u32_e32 v8, v8, v10
	v_mul_lo_u32 v8, v8, s23
	v_add3_u32 v11, v6, v5, v8
	s_cbranch_scc1 .LBB9_9
; %bb.10:
	s_and_b32 s8, s33, 3
	s_cmp_eq_u32 s8, 0
	s_cbranch_scc0 .LBB9_14
	s_branch .LBB9_16
.LBB9_11:
                                        ; implicit-def: $vgpr11
	s_branch .LBB9_17
.LBB9_12:
	v_mov_b32_e32 v11, 0
	s_branch .LBB9_16
.LBB9_13:
	v_mov_b32_e32 v11, 0
	v_mov_b32_e32 v4, v0
	s_and_b32 s8, s33, 3
	s_cmp_eq_u32 s8, 0
	s_cbranch_scc1 .LBB9_16
.LBB9_14:
	s_lshl_b32 s0, s31, 2
	s_add_u32 s0, s16, s0
	s_addc_u32 s1, s17, 0
	s_add_u32 s0, s0, 0xc4
	s_addc_u32 s1, s1, 0
	s_mul_i32 s2, s31, 12
	s_add_u32 s2, s16, s2
	s_addc_u32 s3, s17, 0
.LBB9_15:                               ; =>This Inner Loop Header: Depth=1
	s_load_dwordx2 s[10:11], s[2:3], 0x4
	s_load_dword s9, s[2:3], 0xc
	s_add_u32 s2, s2, 12
	s_addc_u32 s3, s3, 0
	s_waitcnt lgkmcnt(0)
	v_mul_hi_u32 v5, s11, v4
	s_load_dword s11, s[0:1], 0x0
	s_add_u32 s0, s0, 4
	s_addc_u32 s1, s1, 0
	v_add_u32_e32 v5, v4, v5
	v_lshrrev_b32_e32 v5, s9, v5
	v_mul_lo_u32 v6, v5, s10
	s_add_i32 s8, s8, -1
	s_cmp_lg_u32 s8, 0
	v_sub_u32_e32 v4, v4, v6
	s_waitcnt lgkmcnt(0)
	v_mad_u64_u32 v[11:12], s[10:11], v4, s11, v[11:12]
	v_mov_b32_e32 v4, v5
	s_cbranch_scc1 .LBB9_15
.LBB9_16:
	s_cbranch_execnz .LBB9_19
.LBB9_17:
	s_load_dwordx4 s[0:3], s[16:17], 0x4
	s_waitcnt lgkmcnt(0)
	s_load_dword s3, s[16:17], 0xc4
	s_cmp_lt_u32 s30, 2
	v_mul_hi_u32 v4, v0, s1
	v_add_u32_e32 v4, v4, v0
	v_lshrrev_b32_e32 v4, s2, v4
	v_mul_lo_u32 v5, v4, s0
	v_sub_u32_e32 v5, v0, v5
	s_waitcnt lgkmcnt(0)
	v_mul_lo_u32 v11, v5, s3
	s_cbranch_scc1 .LBB9_19
; %bb.18:
	s_load_dwordx4 s[0:3], s[16:17], 0x10
	s_waitcnt lgkmcnt(0)
	s_load_dword s3, s[16:17], 0xc8
                                        ; kill: killed $sgpr16 killed $sgpr17
	v_mul_hi_u32 v5, s1, v4
	v_add_u32_e32 v5, v4, v5
	v_lshrrev_b32_e32 v5, s2, v5
	v_mul_lo_u32 v5, v5, s0
	v_sub_u32_e32 v4, v4, v5
	s_waitcnt lgkmcnt(0)
	v_mad_u64_u32 v[11:12], s[0:1], v4, s3, v[11:12]
.LBB9_19:
	v_mov_b32_e32 v12, 0
	v_lshlrev_b64 v[4:5], 3, v[11:12]
	v_mov_b32_e32 v6, s7
	v_add_co_u32_e32 v4, vcc, s6, v4
	v_addc_co_u32_e32 v5, vcc, v6, v5, vcc
	v_add_u32_e32 v11, 1, v11
	global_load_dwordx2 v[6:7], v[4:5], off
	v_lshlrev_b64 v[4:5], 3, v[11:12]
	v_mov_b32_e32 v8, s7
	v_add_co_u32_e32 v4, vcc, s6, v4
	v_addc_co_u32_e32 v5, vcc, v8, v5, vcc
	global_load_dwordx2 v[4:5], v[4:5], off
	v_mul_lo_u32 v10, v1, s24
	v_mul_lo_u32 v11, v0, s25
	v_mad_u64_u32 v[8:9], s[0:1], v0, s24, 0
	s_mov_b32 s0, 0xd2511f53
	s_mov_b32 s1, 0xcd9e8d57
	v_add3_u32 v9, v9, v11, v10
	v_sub_co_u32_e32 v2, vcc, v2, v8
	v_subb_co_u32_e32 v3, vcc, v3, v9, vcc
	s_mov_b32 s2, 0
	s_mov_b32 s3, 0x41d00000
	s_waitcnt vmcnt(1)
	v_add_u32_e32 v9, 0xbb67ae85, v7
	v_add_u32_e32 v11, 0x76cf5d0a, v7
	;; [unrolled: 1-line block ×7, first 2 shown]
	s_waitcnt vmcnt(0)
	v_add_co_u32_e32 v4, vcc, v4, v2
	v_addc_co_u32_e32 v5, vcc, v5, v3, vcc
	v_mul_lo_u32 v22, v4, s0
	v_mul_hi_u32 v4, v4, s0
	v_xor_b32_e32 v5, v5, v6
	v_mul_hi_u32 v23, v5, s0
	v_mul_lo_u32 v5, v5, s0
	v_xor_b32_e32 v9, v22, v9
	v_xor_b32_e32 v4, v4, v7
	;; [unrolled: 1-line block ×3, first 2 shown]
	v_mul_hi_u32 v22, v4, s1
	v_mul_lo_u32 v4, v4, s1
	v_xor_b32_e32 v5, v5, v11
	v_mul_hi_u32 v11, v9, s1
	v_xor_b32_e32 v8, v8, v22
	v_xor_b32_e32 v4, v4, v10
	v_mul_hi_u32 v10, v8, s0
	v_xor_b32_e32 v4, v4, v11
	v_mul_lo_u32 v8, v8, s0
	v_mul_hi_u32 v11, v4, s0
	v_mul_lo_u32 v9, v9, s1
	v_xor_b32_e32 v5, v5, v10
	v_xor_b32_e32 v8, v8, v14
	;; [unrolled: 1-line block ×3, first 2 shown]
	v_mul_lo_u32 v10, v5, s1
	v_mul_hi_u32 v5, v5, s1
	v_mul_lo_u32 v11, v8, s1
	v_mul_hi_u32 v8, v8, s1
	v_xor_b32_e32 v9, v9, v13
	v_mul_lo_u32 v4, v4, s0
	v_xor_b32_e32 v5, v9, v5
	v_xor_b32_e32 v9, v10, v15
	v_add_u32_e32 v17, 0x1715609d, v6
	v_mul_lo_u32 v10, v5, s0
	v_mul_hi_u32 v5, v5, s0
	v_xor_b32_e32 v8, v9, v8
	v_xor_b32_e32 v9, v11, v17
	v_mul_lo_u32 v11, v8, s0
	v_mul_hi_u32 v8, v8, s0
	v_add_u32_e32 v16, 0xed9eba14, v7
	v_add_u32_e32 v18, 0xa9066899, v7
	v_xor_b32_e32 v4, v4, v16
	v_xor_b32_e32 v4, v4, v5
	;; [unrolled: 1-line block ×3, first 2 shown]
	v_add_u32_e32 v20, 0x646e171e, v7
	v_mul_lo_u32 v10, v4, s1
	v_mul_hi_u32 v4, v4, s1
	v_xor_b32_e32 v5, v5, v8
	v_xor_b32_e32 v8, v11, v20
	v_mul_hi_u32 v11, v5, s1
	v_add_u32_e32 v19, 0xb54cda56, v6
	v_xor_b32_e32 v4, v9, v4
	v_xor_b32_e32 v9, v10, v19
	v_mul_hi_u32 v10, v4, s0
	v_mul_lo_u32 v4, v4, s0
	v_xor_b32_e32 v13, v9, v11
	v_mul_hi_u32 v9, v13, s0
	v_add_u32_e32 v21, 0x1fd5c5a3, v7
	v_xor_b32_e32 v8, v8, v10
	v_xor_b32_e32 v4, v4, v21
	v_mul_lo_u32 v10, v8, s1
	v_xor_b32_e32 v15, v4, v9
	v_mul_hi_u32 v4, v15, s1
	v_add_u32_e32 v9, 0xf1bbcdc8, v6
	v_xor_b32_e32 v9, v10, v9
	v_mul_lo_u32 v10, v5, s1
	v_xor_b32_e32 v9, v9, v4
	v_mul_lo_u32 v4, v9, s0
	v_mul_hi_u32 v8, v8, s1
	s_movk_i32 s1, 0xffe0
	v_add_u32_e32 v11, 0x5384540f, v6
	v_cvt_f64_u32_e32 v[4:5], v4
	v_xor_b32_e32 v10, v10, v11
	v_xor_b32_e32 v16, v10, v8
	v_mul_lo_u32 v10, v16, s0
	v_ldexp_f64 v[4:5], v[4:5], s1
	v_mul_hi_u32 v11, v9, s0
	v_mov_b32_e32 v8, 0
	s_mov_b32 s0, 0
	v_mov_b32_e32 v9, 0x3be00000
	s_mov_b32 s1, 0x3df00000
                                        ; implicit-def: $vgpr14
	v_fma_f64 v[4:5], v[4:5], s[0:1], v[8:9]
	v_add_u32_e32 v8, 0x96a522ad, v7
	v_xor_b32_e32 v8, v10, v8
	v_xor_b32_e32 v8, v8, v11
	v_cvt_f64_u32_e32 v[8:9], v8
                                        ; implicit-def: $vgpr10_vgpr11
	v_fma_f64 v[4:5], v[8:9], s[0:1], v[4:5]
	s_mov_b32 s1, 0x401921fb
	s_mov_b32 s0, 0x54442d18
                                        ; implicit-def: $vgpr8_vgpr9
	v_mul_f64 v[4:5], v[4:5], s[0:1]
	v_cmp_nlt_f64_e64 s[2:3], |v[4:5]|, s[2:3]
	s_and_saveexec_b64 s[6:7], s[2:3]
	s_xor_b64 s[2:3], exec, s[6:7]
	s_cbranch_execz .LBB9_21
; %bb.20:
	v_trig_preop_f64 v[8:9], |v[4:5]|, 0
	s_mov_b32 s6, 0
	s_mov_b32 s7, 0x7b000000
	s_movk_i32 s1, 0xff80
	v_ldexp_f64 v[17:18], |v[4:5]|, s1
	v_cmp_ge_f64_e64 vcc, |v[4:5]|, s[6:7]
	v_trig_preop_f64 v[10:11], |v[4:5]|, 1
	v_and_b32_e32 v14, 0x7fffffff, v5
	v_trig_preop_f64 v[25:26], |v[4:5]|, 2
	s_mov_b32 s6, 0
	s_mov_b32 s7, 0x7ff00000
	v_mov_b32_e32 v35, v12
	s_mov_b32 s1, 0x3ff921fb
	v_cndmask_b32_e32 v18, v14, v18, vcc
	v_cndmask_b32_e32 v17, v4, v17, vcc
	v_mov_b32_e32 v14, 0x40100000
	v_mul_f64 v[19:20], v[8:9], v[17:18]
	v_mul_f64 v[21:22], v[10:11], v[17:18]
	;; [unrolled: 1-line block ×3, first 2 shown]
	v_fma_f64 v[8:9], v[8:9], v[17:18], -v[19:20]
	v_fma_f64 v[10:11], v[10:11], v[17:18], -v[21:22]
	;; [unrolled: 1-line block ×3, first 2 shown]
	v_add_f64 v[23:24], v[21:22], v[8:9]
	v_add_f64 v[27:28], v[23:24], -v[21:22]
	v_add_f64 v[33:34], v[19:20], v[23:24]
	v_add_f64 v[29:30], v[23:24], -v[27:28]
	v_add_f64 v[8:9], v[8:9], -v[27:28]
	v_add_f64 v[27:28], v[31:32], v[10:11]
	v_add_f64 v[19:20], v[33:34], -v[19:20]
	v_add_f64 v[21:22], v[21:22], -v[29:30]
	v_ldexp_f64 v[29:30], v[33:34], -2
	v_add_f64 v[37:38], v[27:28], -v[31:32]
	v_add_f64 v[19:20], v[23:24], -v[19:20]
	v_add_f64 v[8:9], v[8:9], v[21:22]
	v_fract_f64_e32 v[21:22], v[29:30]
	v_cmp_neq_f64_e64 vcc, |v[29:30]|, s[6:7]
	v_add_f64 v[10:11], v[10:11], -v[37:38]
	s_mov_b32 s6, 0x33145c07
	s_mov_b32 s7, 0x3c91a626
	v_add_f64 v[23:24], v[27:28], v[8:9]
	v_ldexp_f64 v[21:22], v[21:22], 2
	v_add_f64 v[29:30], v[19:20], v[23:24]
	v_cndmask_b32_e32 v22, 0, v22, vcc
	v_cndmask_b32_e32 v21, 0, v21, vcc
	v_add_f64 v[33:34], v[29:30], v[21:22]
	v_add_f64 v[19:20], v[29:30], -v[19:20]
	v_cmp_gt_f64_e32 vcc, 0, v[33:34]
	v_add_f64 v[33:34], v[23:24], -v[27:28]
	v_add_f64 v[19:20], v[23:24], -v[19:20]
	v_cndmask_b32_e32 v36, 0, v14, vcc
	v_add_f64 v[21:22], v[21:22], v[35:36]
	v_add_f64 v[35:36], v[27:28], -v[37:38]
	v_add_f64 v[37:38], v[23:24], -v[33:34]
	;; [unrolled: 1-line block ×3, first 2 shown]
	v_add_f64 v[39:40], v[29:30], v[21:22]
	v_add_f64 v[35:36], v[31:32], -v[35:36]
	v_add_f64 v[27:28], v[27:28], -v[37:38]
	v_cvt_i32_f64_e32 v14, v[39:40]
	v_add_f64 v[10:11], v[10:11], v[35:36]
	v_add_f64 v[8:9], v[8:9], v[27:28]
	v_cvt_f64_i32_e32 v[33:34], v14
	v_add_f64 v[21:22], v[21:22], -v[33:34]
	v_add_f64 v[8:9], v[10:11], v[8:9]
	v_add_f64 v[10:11], v[29:30], v[21:22]
	;; [unrolled: 1-line block ×3, first 2 shown]
	v_add_f64 v[17:18], v[10:11], -v[21:22]
	v_cmp_le_f64_e32 vcc, 0.5, v[10:11]
	v_add_f64 v[8:9], v[19:20], v[8:9]
	v_mov_b32_e32 v20, 0x3ff00000
	v_mov_b32_e32 v19, v12
	v_add_f64 v[17:18], v[29:30], -v[17:18]
	v_cndmask_b32_e32 v20, 0, v20, vcc
	v_add_f64 v[10:11], v[10:11], -v[19:20]
	v_addc_co_u32_e32 v14, vcc, 0, v14, vcc
	v_add_f64 v[8:9], v[8:9], v[17:18]
	v_add_f64 v[17:18], v[10:11], v[8:9]
	v_mul_f64 v[19:20], v[17:18], s[0:1]
	v_add_f64 v[10:11], v[17:18], -v[10:11]
	v_fma_f64 v[21:22], v[17:18], s[0:1], -v[19:20]
	v_add_f64 v[8:9], v[8:9], -v[10:11]
	v_fma_f64 v[10:11], v[17:18], s[6:7], v[21:22]
	v_fma_f64 v[10:11], v[8:9], s[0:1], v[10:11]
	v_add_f64 v[8:9], v[19:20], v[10:11]
	v_add_f64 v[17:18], v[8:9], -v[19:20]
	v_add_f64 v[10:11], v[10:11], -v[17:18]
.LBB9_21:
	s_or_saveexec_b64 s[0:1], s[2:3]
	s_load_dwordx2 s[6:7], s[4:5], 0x0
	s_load_dwordx4 s[8:11], s[4:5], 0x28
	s_xor_b64 exec, exec, s[0:1]
	s_cbranch_execz .LBB9_23
; %bb.22:
	s_mov_b32 s2, 0x6dc9c883
	s_mov_b32 s3, 0x3fe45f30
	v_mul_f64 v[8:9], |v[4:5]|, s[2:3]
	s_mov_b32 s2, 0x54442d18
	s_mov_b32 s3, 0xbff921fb
	;; [unrolled: 1-line block ×4, first 2 shown]
	v_rndne_f64_e32 v[17:18], v[8:9]
	v_fma_f64 v[8:9], v[17:18], s[2:3], |v[4:5]|
	v_mul_f64 v[10:11], v[17:18], s[4:5]
	s_mov_b32 s2, 0x252049c0
	s_mov_b32 s3, 0xb97b839a
	v_cvt_i32_f64_e32 v14, v[17:18]
	v_fma_f64 v[23:24], v[17:18], s[4:5], v[8:9]
	v_add_f64 v[19:20], v[8:9], v[10:11]
	s_mov_b32 s5, 0x3c91a626
	v_add_f64 v[21:22], v[8:9], -v[19:20]
	v_add_f64 v[19:20], v[19:20], -v[23:24]
	v_add_f64 v[8:9], v[21:22], v[10:11]
	v_fma_f64 v[10:11], v[17:18], s[4:5], v[10:11]
	v_add_f64 v[8:9], v[19:20], v[8:9]
	v_add_f64 v[8:9], v[8:9], -v[10:11]
	v_fma_f64 v[10:11], v[17:18], s[2:3], v[8:9]
	v_add_f64 v[8:9], v[23:24], v[10:11]
	v_add_f64 v[19:20], v[8:9], -v[23:24]
	v_add_f64 v[10:11], v[10:11], -v[19:20]
.LBB9_23:
	s_or_b64 exec, exec, s[0:1]
	s_mov_b32 s0, 0xd2511f53
	v_mul_lo_u32 v12, v13, s0
	v_mul_hi_u32 v13, v16, s0
	v_add_u32_e32 v7, 0xdb3d7428, v7
	s_mov_b32 s2, 0xcd9e8d57
	v_xor_b32_e32 v7, v12, v7
	v_xor_b32_e32 v7, v7, v13
	v_mul_lo_u32 v12, v7, s2
	s_movk_i32 s0, 0xffe0
	v_mov_b32_e32 v16, 0
	v_mul_lo_u32 v15, v15, s2
	v_cvt_f64_u32_e32 v[12:13], v12
	v_mov_b32_e32 v17, 0x3be00000
	v_mul_hi_u32 v7, v7, s2
	v_add_u32_e32 v6, 0x8ff34781, v6
	v_ldexp_f64 v[12:13], v[12:13], s0
	s_mov_b32 s0, 0
	s_mov_b32 s1, 0x3df00000
	v_xor_b32_e32 v6, v15, v6
	v_xor_b32_e32 v6, v6, v7
	v_cvt_f64_u32_e32 v[6:7], v6
	s_mov_b32 s2, 0xbf559e2b
	s_mov_b32 s3, 0x3fc3ab76
	v_fma_f64 v[12:13], v[12:13], s[0:1], v[16:17]
	s_mov_b32 s4, 0x796cde01
	s_mov_b32 s14, 0x46cc5e42
	;; [unrolled: 1-line block ×6, first 2 shown]
	s_bitcmp1_b32 s18, 0
	v_fma_f64 v[6:7], v[6:7], s[0:1], v[12:13]
	s_mov_b32 s1, 0x3fe55555
	s_mov_b32 s0, 0x55555555
	v_frexp_mant_f64_e32 v[12:13], v[6:7]
	v_cmp_gt_f64_e32 vcc, s[0:1], v[12:13]
	v_cndmask_b32_e64 v15, 0, 1, vcc
	v_ldexp_f64 v[12:13], v[12:13], v15
	v_add_f64 v[15:16], v[12:13], 1.0
	v_add_f64 v[21:22], v[12:13], -1.0
	v_rcp_f64_e32 v[17:18], v[15:16]
	v_add_f64 v[23:24], v[15:16], -1.0
	v_add_f64 v[12:13], v[12:13], -v[23:24]
	v_fma_f64 v[19:20], -v[15:16], v[17:18], 1.0
	v_fma_f64 v[17:18], v[19:20], v[17:18], v[17:18]
	v_fma_f64 v[19:20], -v[15:16], v[17:18], 1.0
	v_fma_f64 v[17:18], v[19:20], v[17:18], v[17:18]
	v_mul_f64 v[19:20], v[21:22], v[17:18]
	v_mul_f64 v[25:26], v[15:16], v[19:20]
	v_fma_f64 v[15:16], v[19:20], v[15:16], -v[25:26]
	v_fma_f64 v[12:13], v[19:20], v[12:13], v[15:16]
	v_add_f64 v[15:16], v[25:26], v[12:13]
	v_add_f64 v[23:24], v[21:22], -v[15:16]
	v_add_f64 v[25:26], v[15:16], -v[25:26]
	;; [unrolled: 1-line block ×5, first 2 shown]
	v_mov_b32_e32 v21, 0x6b47b09a
	v_mov_b32_e32 v22, 0x3fc38538
	v_add_f64 v[12:13], v[12:13], v[15:16]
	v_add_f64 v[12:13], v[23:24], v[12:13]
	v_mul_f64 v[12:13], v[17:18], v[12:13]
	v_add_f64 v[15:16], v[19:20], v[12:13]
	v_mul_f64 v[17:18], v[15:16], v[15:16]
	v_fma_f64 v[21:22], v[17:18], s[2:3], v[21:22]
	s_mov_b32 s2, 0xd7f4df2e
	s_mov_b32 s3, 0x3fc7474d
	v_mul_f64 v[23:24], v[15:16], v[17:18]
	v_fma_f64 v[21:22], v[17:18], v[21:22], s[2:3]
	s_mov_b32 s2, 0x16291751
	s_mov_b32 s3, 0x3fcc71c0
	v_fma_f64 v[21:22], v[17:18], v[21:22], s[2:3]
	s_mov_b32 s2, 0x9b27acf1
	s_mov_b32 s3, 0x3fd24924
	;; [unrolled: 3-line block ×4, first 2 shown]
	s_movk_i32 s1, 0x204
	v_fma_f64 v[17:18], v[17:18], v[21:22], s[2:3]
	v_ldexp_f64 v[21:22], v[15:16], 1
	v_add_f64 v[15:16], v[15:16], -v[19:20]
	s_mov_b32 s2, 0xfefa39ef
	s_mov_b32 s3, 0x3fe62e42
	v_mul_f64 v[17:18], v[23:24], v[17:18]
	v_frexp_exp_i32_f64_e32 v23, v[6:7]
	v_add_f64 v[12:13], v[12:13], -v[15:16]
	v_add_f64 v[19:20], v[21:22], v[17:18]
	v_subbrev_co_u32_e32 v23, vcc, 0, v23, vcc
	v_cvt_f64_i32_e32 v[23:24], v23
	v_ldexp_f64 v[12:13], v[12:13], 1
	v_cmp_class_f64_e64 vcc, v[6:7], s1
	s_mov_b32 s1, 0x3fa55555
	v_mul_f64 v[25:26], v[23:24], s[2:3]
	v_add_f64 v[15:16], v[19:20], -v[21:22]
	v_fma_f64 v[21:22], v[23:24], s[2:3], -v[25:26]
	v_add_f64 v[15:16], v[17:18], -v[15:16]
	s_mov_b32 s2, 0x3b39803f
	s_mov_b32 s3, 0x3c7abc9e
	v_fma_f64 v[17:18], v[23:24], s[2:3], v[21:22]
	v_add_f64 v[12:13], v[12:13], v[15:16]
	s_mov_b32 s2, 0
	s_brev_b32 s3, 8
	v_add_f64 v[15:16], v[25:26], v[17:18]
	v_add_f64 v[21:22], v[19:20], v[12:13]
	v_add_f64 v[25:26], v[15:16], -v[25:26]
	v_add_f64 v[23:24], v[15:16], v[21:22]
	v_add_f64 v[19:20], v[21:22], -v[19:20]
	v_add_f64 v[17:18], v[17:18], -v[25:26]
	;; [unrolled: 1-line block ×6, first 2 shown]
	v_add_f64 v[21:22], v[17:18], v[12:13]
	v_add_f64 v[15:16], v[15:16], -v[29:30]
	v_mul_f64 v[28:29], v[10:11], 0.5
	v_add_f64 v[15:16], v[19:20], v[15:16]
	v_add_f64 v[19:20], v[21:22], -v[17:18]
	v_add_f64 v[15:16], v[21:22], v[15:16]
	v_add_f64 v[21:22], v[21:22], -v[19:20]
	v_add_f64 v[12:13], v[12:13], -v[19:20]
	v_add_f64 v[25:26], v[23:24], v[15:16]
	v_add_f64 v[17:18], v[17:18], -v[21:22]
	v_mov_b32_e32 v21, 0x3e21eeb6
	v_add_f64 v[19:20], v[25:26], -v[23:24]
	v_add_f64 v[12:13], v[12:13], v[17:18]
	v_mov_b32_e32 v17, 0x100
	v_add_f64 v[15:16], v[15:16], -v[19:20]
	v_mov_b32_e32 v20, 0x9037ab78
	v_add_f64 v[12:13], v[12:13], v[15:16]
	v_mov_b32_e32 v15, 0x7ff80000
	v_mov_b32_e32 v16, 0x7ff00000
	v_add_f64 v[12:13], v[25:26], v[12:13]
	v_cndmask_b32_e32 v13, v13, v7, vcc
	v_cndmask_b32_e32 v12, v12, v6, vcc
	v_mul_f64 v[12:13], v[12:13], -2.0
	v_cmp_ngt_f64_e32 vcc, 0, v[6:7]
	v_cndmask_b32_e32 v13, v15, v13, vcc
	v_cmp_nge_f64_e32 vcc, 0, v[6:7]
	v_cndmask_b32_e32 v12, 0, v12, vcc
	v_cmp_neq_f64_e32 vcc, 0, v[6:7]
	v_cndmask_b32_e32 v13, v16, v13, vcc
	v_cmp_gt_f64_e32 vcc, s[2:3], v[12:13]
	s_mov_b32 s2, 0xf9a43bb8
	v_mov_b32_e32 v16, 0xb42fdfa7
	s_mov_b32 s3, 0x3de5e0b2
	v_cndmask_b32_e32 v6, 0, v17, vcc
	v_ldexp_f64 v[6:7], v[12:13], v6
	v_mul_f64 v[12:13], v[8:9], v[8:9]
	v_mov_b32_e32 v17, 0xbe5ae600
	v_rsq_f64_e32 v[18:19], v[6:7]
	v_fma_f64 v[16:17], v[12:13], s[2:3], v[16:17]
	v_mul_f64 v[22:23], v[12:13], 0.5
	v_fma_f64 v[20:21], v[12:13], s[14:15], v[20:21]
	s_mov_b32 s2, 0x11110bb3
	s_mov_b32 s3, 0x3f811111
	v_mul_f64 v[34:35], v[8:9], -v[12:13]
	v_fma_f64 v[16:17], v[12:13], v[16:17], s[4:5]
	s_mov_b32 s4, 0xa17f65f6
	s_mov_b32 s5, 0xbe927e4f
	v_add_f64 v[26:27], -v[22:23], 1.0
	v_fma_f64 v[20:21], v[12:13], v[20:21], s[4:5]
	s_mov_b32 s4, 0x19f4ec90
	s_mov_b32 s5, 0x3efa01a0
	v_mul_f64 v[24:25], v[6:7], v[18:19]
	v_mul_f64 v[18:19], v[18:19], 0.5
	v_fma_f64 v[16:17], v[12:13], v[16:17], s[12:13]
	s_cselect_b64 s[12:13], -1, 0
	v_add_f64 v[32:33], -v[26:27], 1.0
	v_fma_f64 v[20:21], v[12:13], v[20:21], s[4:5]
	s_mov_b64 s[4:5], 0
	v_fma_f64 v[30:31], -v[18:19], v[24:25], 0.5
	v_fma_f64 v[16:17], v[12:13], v[16:17], s[2:3]
	s_mov_b32 s2, 0x16c16967
	s_mov_b32 s3, 0xbf56c16c
	v_add_f64 v[22:23], v[32:33], -v[22:23]
	v_fma_f64 v[20:21], v[12:13], v[20:21], s[2:3]
	v_fma_f64 v[24:25], v[24:25], v[30:31], v[24:25]
	;; [unrolled: 1-line block ×4, first 2 shown]
	v_mul_f64 v[30:31], v[12:13], v[12:13]
	v_fma_f64 v[22:23], v[8:9], -v[10:11], v[22:23]
	v_fma_f64 v[20:21], v[12:13], v[20:21], s[0:1]
	s_mov_b32 s1, 0xbfc55555
	v_fma_f64 v[28:29], -v[24:25], v[24:25], v[6:7]
	v_fma_f64 v[10:11], v[12:13], v[16:17], -v[10:11]
	v_lshlrev_b32_e32 v16, 30, v14
	v_and_b32_e32 v14, 1, v14
	v_cmp_eq_u32_e64 s[2:3], 0, v14
	v_fma_f64 v[12:13], v[30:31], v[20:21], v[22:23]
	v_fma_f64 v[24:25], v[28:29], v[18:19], v[24:25]
	;; [unrolled: 1-line block ×3, first 2 shown]
	v_mov_b32_e32 v29, 0xffffff80
	s_movk_i32 s0, 0x1f8
	v_mov_b32_e32 v28, 0x260
	v_add_f64 v[10:11], v[26:27], v[12:13]
	v_cmp_class_f64_e64 s[0:1], v[4:5], s0
	v_cndmask_b32_e32 v4, 0, v29, vcc
	v_fma_f64 v[22:23], -v[24:25], v[24:25], v[6:7]
	v_add_f64 v[8:9], v[8:9], -v[20:21]
	v_cmp_class_f64_e32 vcc, v[6:7], v28
	v_mul_lo_u32 v20, v1, s18
	v_and_b32_e32 v1, 0x80000000, v16
	v_lshlrev_b64 v[12:13], 1, v[2:3]
	v_fma_f64 v[17:18], v[22:23], v[18:19], v[24:25]
	v_cndmask_b32_e64 v14, v8, v10, s[2:3]
	v_cndmask_b32_e64 v14, 0, v14, s[0:1]
	v_mul_lo_u32 v19, v0, s19
	v_ldexp_f64 v[17:18], v[17:18], v4
	v_xor_b32_e32 v4, 0x80000000, v9
	v_cndmask_b32_e64 v4, v4, v11, s[2:3]
	v_xor_b32_e32 v1, v4, v1
	v_cndmask_b32_e64 v15, v15, v1, s[0:1]
	v_mad_u64_u32 v[0:1], s[14:15], v0, s18, v[12:13]
	s_lshr_b32 s14, s19, 31
	v_cndmask_b32_e32 v7, v18, v7, vcc
	v_cndmask_b32_e32 v6, v17, v6, vcc
	v_mul_f64 v[14:15], v[6:7], v[14:15]
	s_add_u32 s14, s18, s14
	s_addc_u32 s15, s19, 0
	s_ashr_i64 s[14:15], s[14:15], 1
	v_cmp_le_i64_e32 vcc, s[14:15], v[2:3]
	v_add3_u32 v1, v20, v1, v19
	s_or_b64 s[12:13], s[12:13], vcc
	s_and_saveexec_b64 s[14:15], s[12:13]
	s_xor_b64 s[12:13], exec, s[14:15]
	s_cbranch_execnz .LBB9_28
; %bb.24:
	s_andn2_saveexec_b64 s[12:13], s[12:13]
	s_cbranch_execnz .LBB9_31
.LBB9_25:
	s_or_b64 exec, exec, s[12:13]
	s_and_b64 exec, exec, s[4:5]
	s_cbranch_execz .LBB9_27
.LBB9_26:
	v_xor_b32_e32 v4, v16, v5
	v_cndmask_b32_e64 v3, v11, v9, s[2:3]
	v_and_b32_e32 v4, 0x80000000, v4
	v_cndmask_b32_e64 v2, v10, v8, s[2:3]
	v_xor_b32_e32 v3, v3, v4
	v_mov_b32_e32 v4, 0x7ff80000
	v_cndmask_b32_e64 v2, 0, v2, s[0:1]
	v_cndmask_b32_e64 v3, v4, v3, s[0:1]
	v_mul_f64 v[2:3], v[6:7], v[2:3]
	s_waitcnt lgkmcnt(0)
	v_mov_b32_e32 v4, s8
	v_mov_b32_e32 v5, s9
	v_lshlrev_b64 v[0:1], 3, v[0:1]
	v_add_co_u32_e32 v0, vcc, s6, v0
	v_fma_f64 v[2:3], s[10:11], v[2:3], v[4:5]
	v_mov_b32_e32 v4, s7
	v_addc_co_u32_e32 v1, vcc, v4, v1, vcc
	global_store_dwordx2 v[0:1], v[2:3], off offset:8
.LBB9_27:
	s_endpgm
.LBB9_28:
	v_cmp_gt_i64_e32 vcc, s[18:19], v[12:13]
	s_mov_b64 s[14:15], 0
	s_and_saveexec_b64 s[4:5], vcc
	s_cbranch_execz .LBB9_30
; %bb.29:
	s_waitcnt lgkmcnt(0)
	v_mov_b32_e32 v18, s9
	v_mov_b32_e32 v17, s8
	v_fma_f64 v[14:15], s[10:11], v[14:15], v[17:18]
	v_lshlrev_b64 v[2:3], 3, v[0:1]
	v_mov_b32_e32 v4, s7
	v_add_co_u32_e32 v2, vcc, s6, v2
	v_addc_co_u32_e32 v3, vcc, v4, v3, vcc
	v_or_b32_e32 v12, 1, v12
	v_cmp_gt_u64_e32 vcc, s[18:19], v[12:13]
	global_store_dwordx2 v[2:3], v[14:15], off
	s_and_b64 s[14:15], vcc, exec
.LBB9_30:
	s_or_b64 exec, exec, s[4:5]
	s_and_b64 s[4:5], s[14:15], exec
                                        ; implicit-def: $vgpr14_vgpr15
	s_andn2_saveexec_b64 s[12:13], s[12:13]
	s_cbranch_execz .LBB9_25
.LBB9_31:
	s_waitcnt lgkmcnt(0)
	v_mov_b32_e32 v2, s8
	v_mov_b32_e32 v3, s9
	v_fma_f64 v[2:3], s[10:11], v[14:15], v[2:3]
	v_lshlrev_b64 v[12:13], 3, v[0:1]
	v_mov_b32_e32 v4, s7
	v_add_co_u32_e32 v12, vcc, s6, v12
	v_addc_co_u32_e32 v13, vcc, v4, v13, vcc
	s_or_b64 s[4:5], s[4:5], exec
	global_store_dwordx2 v[12:13], v[2:3], off
	s_or_b64 exec, exec, s[12:13]
	s_and_b64 exec, exec, s[4:5]
	s_cbranch_execnz .LBB9_26
	s_branch .LBB9_27
	.section	.rodata,"a",@progbits
	.p2align	6, 0x0
	.amdhsa_kernel _ZN2at6native12_GLOBAL__N_123philox_multi_key_kernelIdZZZZNS0_20_philox_normal_cuda_ERNS_6TensorERKS3_ddENKUlvE_clEvENKUlvE_clEvENKUlvE_clEvEUlmmE_ZZZNS0_20_philox_normal_cuda_ES4_S6_ddENKS7_clEvENKS8_clEvEUldE_EEvPT_PKmllT0_T1_16OffsetCalculatorILi1EjLb0EE
		.amdhsa_group_segment_fixed_size 0
		.amdhsa_private_segment_fixed_size 0
		.amdhsa_kernarg_size 576
		.amdhsa_user_sgpr_count 6
		.amdhsa_user_sgpr_private_segment_buffer 1
		.amdhsa_user_sgpr_dispatch_ptr 0
		.amdhsa_user_sgpr_queue_ptr 0
		.amdhsa_user_sgpr_kernarg_segment_ptr 1
		.amdhsa_user_sgpr_dispatch_id 0
		.amdhsa_user_sgpr_flat_scratch_init 0
		.amdhsa_user_sgpr_private_segment_size 0
		.amdhsa_uses_dynamic_stack 0
		.amdhsa_system_sgpr_private_segment_wavefront_offset 0
		.amdhsa_system_sgpr_workgroup_id_x 1
		.amdhsa_system_sgpr_workgroup_id_y 0
		.amdhsa_system_sgpr_workgroup_id_z 0
		.amdhsa_system_sgpr_workgroup_info 0
		.amdhsa_system_vgpr_workitem_id 0
		.amdhsa_next_free_vgpr 41
		.amdhsa_next_free_sgpr 35
		.amdhsa_reserve_vcc 1
		.amdhsa_reserve_flat_scratch 0
		.amdhsa_float_round_mode_32 0
		.amdhsa_float_round_mode_16_64 0
		.amdhsa_float_denorm_mode_32 3
		.amdhsa_float_denorm_mode_16_64 3
		.amdhsa_dx10_clamp 1
		.amdhsa_ieee_mode 1
		.amdhsa_fp16_overflow 0
		.amdhsa_exception_fp_ieee_invalid_op 0
		.amdhsa_exception_fp_denorm_src 0
		.amdhsa_exception_fp_ieee_div_zero 0
		.amdhsa_exception_fp_ieee_overflow 0
		.amdhsa_exception_fp_ieee_underflow 0
		.amdhsa_exception_fp_ieee_inexact 0
		.amdhsa_exception_int_div_zero 0
	.end_amdhsa_kernel
	.section	.text._ZN2at6native12_GLOBAL__N_123philox_multi_key_kernelIdZZZZNS0_20_philox_normal_cuda_ERNS_6TensorERKS3_ddENKUlvE_clEvENKUlvE_clEvENKUlvE_clEvEUlmmE_ZZZNS0_20_philox_normal_cuda_ES4_S6_ddENKS7_clEvENKS8_clEvEUldE_EEvPT_PKmllT0_T1_16OffsetCalculatorILi1EjLb0EE,"axG",@progbits,_ZN2at6native12_GLOBAL__N_123philox_multi_key_kernelIdZZZZNS0_20_philox_normal_cuda_ERNS_6TensorERKS3_ddENKUlvE_clEvENKUlvE_clEvENKUlvE_clEvEUlmmE_ZZZNS0_20_philox_normal_cuda_ES4_S6_ddENKS7_clEvENKS8_clEvEUldE_EEvPT_PKmllT0_T1_16OffsetCalculatorILi1EjLb0EE,comdat
.Lfunc_end9:
	.size	_ZN2at6native12_GLOBAL__N_123philox_multi_key_kernelIdZZZZNS0_20_philox_normal_cuda_ERNS_6TensorERKS3_ddENKUlvE_clEvENKUlvE_clEvENKUlvE_clEvEUlmmE_ZZZNS0_20_philox_normal_cuda_ES4_S6_ddENKS7_clEvENKS8_clEvEUldE_EEvPT_PKmllT0_T1_16OffsetCalculatorILi1EjLb0EE, .Lfunc_end9-_ZN2at6native12_GLOBAL__N_123philox_multi_key_kernelIdZZZZNS0_20_philox_normal_cuda_ERNS_6TensorERKS3_ddENKUlvE_clEvENKUlvE_clEvENKUlvE_clEvEUlmmE_ZZZNS0_20_philox_normal_cuda_ES4_S6_ddENKS7_clEvENKS8_clEvEUldE_EEvPT_PKmllT0_T1_16OffsetCalculatorILi1EjLb0EE
                                        ; -- End function
	.set _ZN2at6native12_GLOBAL__N_123philox_multi_key_kernelIdZZZZNS0_20_philox_normal_cuda_ERNS_6TensorERKS3_ddENKUlvE_clEvENKUlvE_clEvENKUlvE_clEvEUlmmE_ZZZNS0_20_philox_normal_cuda_ES4_S6_ddENKS7_clEvENKS8_clEvEUldE_EEvPT_PKmllT0_T1_16OffsetCalculatorILi1EjLb0EE.num_vgpr, 41
	.set _ZN2at6native12_GLOBAL__N_123philox_multi_key_kernelIdZZZZNS0_20_philox_normal_cuda_ERNS_6TensorERKS3_ddENKUlvE_clEvENKUlvE_clEvENKUlvE_clEvEUlmmE_ZZZNS0_20_philox_normal_cuda_ES4_S6_ddENKS7_clEvENKS8_clEvEUldE_EEvPT_PKmllT0_T1_16OffsetCalculatorILi1EjLb0EE.num_agpr, 0
	.set _ZN2at6native12_GLOBAL__N_123philox_multi_key_kernelIdZZZZNS0_20_philox_normal_cuda_ERNS_6TensorERKS3_ddENKUlvE_clEvENKUlvE_clEvENKUlvE_clEvEUlmmE_ZZZNS0_20_philox_normal_cuda_ES4_S6_ddENKS7_clEvENKS8_clEvEUldE_EEvPT_PKmllT0_T1_16OffsetCalculatorILi1EjLb0EE.numbered_sgpr, 35
	.set _ZN2at6native12_GLOBAL__N_123philox_multi_key_kernelIdZZZZNS0_20_philox_normal_cuda_ERNS_6TensorERKS3_ddENKUlvE_clEvENKUlvE_clEvENKUlvE_clEvEUlmmE_ZZZNS0_20_philox_normal_cuda_ES4_S6_ddENKS7_clEvENKS8_clEvEUldE_EEvPT_PKmllT0_T1_16OffsetCalculatorILi1EjLb0EE.num_named_barrier, 0
	.set _ZN2at6native12_GLOBAL__N_123philox_multi_key_kernelIdZZZZNS0_20_philox_normal_cuda_ERNS_6TensorERKS3_ddENKUlvE_clEvENKUlvE_clEvENKUlvE_clEvEUlmmE_ZZZNS0_20_philox_normal_cuda_ES4_S6_ddENKS7_clEvENKS8_clEvEUldE_EEvPT_PKmllT0_T1_16OffsetCalculatorILi1EjLb0EE.private_seg_size, 0
	.set _ZN2at6native12_GLOBAL__N_123philox_multi_key_kernelIdZZZZNS0_20_philox_normal_cuda_ERNS_6TensorERKS3_ddENKUlvE_clEvENKUlvE_clEvENKUlvE_clEvEUlmmE_ZZZNS0_20_philox_normal_cuda_ES4_S6_ddENKS7_clEvENKS8_clEvEUldE_EEvPT_PKmllT0_T1_16OffsetCalculatorILi1EjLb0EE.uses_vcc, 1
	.set _ZN2at6native12_GLOBAL__N_123philox_multi_key_kernelIdZZZZNS0_20_philox_normal_cuda_ERNS_6TensorERKS3_ddENKUlvE_clEvENKUlvE_clEvENKUlvE_clEvEUlmmE_ZZZNS0_20_philox_normal_cuda_ES4_S6_ddENKS7_clEvENKS8_clEvEUldE_EEvPT_PKmllT0_T1_16OffsetCalculatorILi1EjLb0EE.uses_flat_scratch, 0
	.set _ZN2at6native12_GLOBAL__N_123philox_multi_key_kernelIdZZZZNS0_20_philox_normal_cuda_ERNS_6TensorERKS3_ddENKUlvE_clEvENKUlvE_clEvENKUlvE_clEvEUlmmE_ZZZNS0_20_philox_normal_cuda_ES4_S6_ddENKS7_clEvENKS8_clEvEUldE_EEvPT_PKmllT0_T1_16OffsetCalculatorILi1EjLb0EE.has_dyn_sized_stack, 0
	.set _ZN2at6native12_GLOBAL__N_123philox_multi_key_kernelIdZZZZNS0_20_philox_normal_cuda_ERNS_6TensorERKS3_ddENKUlvE_clEvENKUlvE_clEvENKUlvE_clEvEUlmmE_ZZZNS0_20_philox_normal_cuda_ES4_S6_ddENKS7_clEvENKS8_clEvEUldE_EEvPT_PKmllT0_T1_16OffsetCalculatorILi1EjLb0EE.has_recursion, 0
	.set _ZN2at6native12_GLOBAL__N_123philox_multi_key_kernelIdZZZZNS0_20_philox_normal_cuda_ERNS_6TensorERKS3_ddENKUlvE_clEvENKUlvE_clEvENKUlvE_clEvEUlmmE_ZZZNS0_20_philox_normal_cuda_ES4_S6_ddENKS7_clEvENKS8_clEvEUldE_EEvPT_PKmllT0_T1_16OffsetCalculatorILi1EjLb0EE.has_indirect_call, 0
	.section	.AMDGPU.csdata,"",@progbits
; Kernel info:
; codeLenInByte = 5032
; TotalNumSgprs: 39
; NumVgprs: 41
; ScratchSize: 0
; MemoryBound: 0
; FloatMode: 240
; IeeeMode: 1
; LDSByteSize: 0 bytes/workgroup (compile time only)
; SGPRBlocks: 4
; VGPRBlocks: 10
; NumSGPRsForWavesPerEU: 39
; NumVGPRsForWavesPerEU: 41
; Occupancy: 5
; WaveLimiterHint : 1
; COMPUTE_PGM_RSRC2:SCRATCH_EN: 0
; COMPUTE_PGM_RSRC2:USER_SGPR: 6
; COMPUTE_PGM_RSRC2:TRAP_HANDLER: 0
; COMPUTE_PGM_RSRC2:TGID_X_EN: 1
; COMPUTE_PGM_RSRC2:TGID_Y_EN: 0
; COMPUTE_PGM_RSRC2:TGID_Z_EN: 0
; COMPUTE_PGM_RSRC2:TIDIG_COMP_CNT: 0
	.section	.text._ZN2at6native12_GLOBAL__N_124philox_single_key_kernelIfZZZZNS0_20_philox_normal_cuda_ERNS_6TensorERKS3_ddENKUlvE_clEvENKUlvE0_clEvENKUlvE_clEvEUlmmE0_ZZZNS0_20_philox_normal_cuda_ES4_S6_ddENKS7_clEvENKS8_clEvEUlfE_EEvPT_PKmlT0_T1_,"axG",@progbits,_ZN2at6native12_GLOBAL__N_124philox_single_key_kernelIfZZZZNS0_20_philox_normal_cuda_ERNS_6TensorERKS3_ddENKUlvE_clEvENKUlvE0_clEvENKUlvE_clEvEUlmmE0_ZZZNS0_20_philox_normal_cuda_ES4_S6_ddENKS7_clEvENKS8_clEvEUlfE_EEvPT_PKmlT0_T1_,comdat
	.globl	_ZN2at6native12_GLOBAL__N_124philox_single_key_kernelIfZZZZNS0_20_philox_normal_cuda_ERNS_6TensorERKS3_ddENKUlvE_clEvENKUlvE0_clEvENKUlvE_clEvEUlmmE0_ZZZNS0_20_philox_normal_cuda_ES4_S6_ddENKS7_clEvENKS8_clEvEUlfE_EEvPT_PKmlT0_T1_ ; -- Begin function _ZN2at6native12_GLOBAL__N_124philox_single_key_kernelIfZZZZNS0_20_philox_normal_cuda_ERNS_6TensorERKS3_ddENKUlvE_clEvENKUlvE0_clEvENKUlvE_clEvEUlmmE0_ZZZNS0_20_philox_normal_cuda_ES4_S6_ddENKS7_clEvENKS8_clEvEUlfE_EEvPT_PKmlT0_T1_
	.p2align	8
	.type	_ZN2at6native12_GLOBAL__N_124philox_single_key_kernelIfZZZZNS0_20_philox_normal_cuda_ERNS_6TensorERKS3_ddENKUlvE_clEvENKUlvE0_clEvENKUlvE_clEvEUlmmE0_ZZZNS0_20_philox_normal_cuda_ES4_S6_ddENKS7_clEvENKS8_clEvEUlfE_EEvPT_PKmlT0_T1_,@function
_ZN2at6native12_GLOBAL__N_124philox_single_key_kernelIfZZZZNS0_20_philox_normal_cuda_ERNS_6TensorERKS3_ddENKUlvE_clEvENKUlvE0_clEvENKUlvE_clEvEUlmmE0_ZZZNS0_20_philox_normal_cuda_ES4_S6_ddENKS7_clEvENKS8_clEvEUlfE_EEvPT_PKmlT0_T1_: ; @_ZN2at6native12_GLOBAL__N_124philox_single_key_kernelIfZZZZNS0_20_philox_normal_cuda_ERNS_6TensorERKS3_ddENKUlvE_clEvENKUlvE0_clEvENKUlvE_clEvEUlmmE0_ZZZNS0_20_philox_normal_cuda_ES4_S6_ddENKS7_clEvENKS8_clEvEUlfE_EEvPT_PKmlT0_T1_
; %bb.0:
	s_load_dwordx2 s[18:19], s[6:7], 0x10
	s_load_dwordx4 s[12:15], s[6:7], 0x0
	s_load_dwordx2 s[16:17], s[6:7], 0x1c
	s_load_dword s2, s[6:7], 0x34
	v_mov_b32_e32 v3, v1
	s_waitcnt lgkmcnt(0)
	s_ashr_i32 s0, s19, 31
	s_lshr_b32 s0, s0, 30
	s_add_u32 s0, s18, s0
	s_addc_u32 s1, s19, 0
	s_and_b32 s2, s2, 0xffff
	v_mov_b32_e32 v1, 0
	v_mov_b32_e32 v4, s8
	v_mad_u64_u32 v[4:5], s[2:3], s2, v4, v[0:1]
	s_load_dwordx4 s[8:11], s[14:15], 0x0
	s_ashr_i64 s[6:7], s[0:1], 2
	v_cmp_gt_i64_e32 vcc, s[6:7], v[4:5]
	s_and_saveexec_b64 s[14:15], vcc
	s_cbranch_execz .LBB10_2
; %bb.1:
	s_waitcnt lgkmcnt(0)
	v_add_co_u32_e32 v6, vcc, s10, v4
	s_mov_b32 s0, 0xd2511f53
	v_mul_hi_u32 v7, v6, s0
	v_mov_b32_e32 v1, s11
	v_addc_co_u32_e32 v1, vcc, v5, v1, vcc
	v_xor_b32_e32 v7, s9, v7
	s_mov_b32 s20, 0xcd9e8d57
	v_mul_lo_u32 v6, v6, s0
	v_xor_b32_e32 v1, s8, v1
	v_mul_hi_u32 v8, v7, s20
	v_mul_lo_u32 v9, v1, s0
	v_mul_hi_u32 v1, v1, s0
	s_add_i32 s2, s8, 0x9e3779b9
	s_add_i32 s3, s9, 0xbb67ae85
	v_xor_b32_e32 v8, s2, v8
	v_xor_b32_e32 v6, s3, v6
	v_mul_lo_u32 v7, v7, s20
	v_xor_b32_e32 v1, v6, v1
	v_mul_lo_u32 v6, v8, s0
	v_mul_hi_u32 v8, v8, s0
	v_mul_hi_u32 v10, v1, s20
	s_add_i32 s3, s9, 0x76cf5d0a
	s_add_i32 s2, s8, 0x3c6ef372
	v_xor_b32_e32 v9, s3, v9
	v_mul_lo_u32 v1, v1, s20
	v_xor_b32_e32 v7, s2, v7
	v_xor_b32_e32 v8, v9, v8
	v_xor_b32_e32 v7, v7, v10
	v_mul_hi_u32 v10, v8, s20
	v_mul_lo_u32 v9, v7, s0
	v_mul_hi_u32 v7, v7, s0
	s_add_i32 s2, s8, 0xdaa66d2b
	s_add_i32 s3, s9, 0x32370b8f
	v_xor_b32_e32 v1, s2, v1
	v_xor_b32_e32 v1, v1, v10
	v_xor_b32_e32 v6, s3, v6
	v_mul_lo_u32 v8, v8, s20
	v_xor_b32_e32 v6, v6, v7
	v_mul_lo_u32 v7, v1, s0
	v_mul_hi_u32 v1, v1, s0
	v_mul_hi_u32 v10, v6, s20
	s_add_i32 s3, s9, 0xed9eba14
	s_add_i32 s2, s8, 0x78dde6e4
	v_xor_b32_e32 v9, s3, v9
	v_mul_lo_u32 v6, v6, s20
	v_xor_b32_e32 v8, s2, v8
	v_xor_b32_e32 v1, v9, v1
	v_xor_b32_e32 v8, v8, v10
	v_mul_hi_u32 v10, v1, s20
	v_mul_lo_u32 v9, v8, s0
	v_mul_hi_u32 v8, v8, s0
	s_add_i32 s2, s8, 0x1715609d
	s_add_i32 s3, s9, 0xa9066899
	v_xor_b32_e32 v6, s2, v6
	;; [unrolled: 20-line block ×3, first 2 shown]
	v_xor_b32_e32 v7, v7, v10
	v_xor_b32_e32 v8, s3, v8
	v_mul_lo_u32 v6, v6, s20
	v_xor_b32_e32 v1, v8, v1
	v_mul_lo_u32 v8, v7, s0
	v_mul_hi_u32 v7, v7, s0
	v_mul_hi_u32 v10, v1, s20
	s_add_i32 s3, s9, 0xdb3d7428
	s_add_i32 s2, s8, 0xf1bbcdc8
	v_xor_b32_e32 v9, s3, v9
	v_mul_lo_u32 v1, v1, s20
	v_xor_b32_e32 v6, s2, v6
	v_xor_b32_e32 v7, v9, v7
	;; [unrolled: 1-line block ×3, first 2 shown]
	v_mul_hi_u32 v10, v7, s20
	s_add_i32 s1, s8, 0x8ff34781
	v_mul_lo_u32 v7, v7, s20
	v_xor_b32_e32 v1, s1, v1
	v_xor_b32_e32 v1, v1, v10
	v_cvt_f32_u32_e32 v1, v1
	v_cvt_f32_u32_e32 v7, v7
	s_add_i32 s2, s9, 0x96a522ad
	v_mov_b32_e32 v10, 0x2f000000
	v_xor_b32_e32 v8, s2, v8
	v_fmac_f32_e32 v10, 0x2f800000, v1
	s_mov_b32 s2, 0x800000
	v_mov_b32_e32 v1, 0x2f000000
	v_cmp_gt_f32_e32 vcc, s2, v10
	v_fmac_f32_e32 v1, 0x2f800000, v7
	v_cndmask_b32_e64 v7, 0, 32, vcc
	v_ldexp_f32 v7, v10, v7
	v_log_f32_e32 v7, v7
	s_mov_b32 s20, 0x3f317217
	s_mov_b32 s21, 0x7f800000
	v_mul_lo_u32 v9, v6, s0
	v_mul_f32_e32 v10, 0x3f317217, v7
	v_fma_f32 v10, v7, s20, -v10
	v_fmac_f32_e32 v10, 0x3377d1cf, v7
	v_mul_hi_u32 v6, v6, s0
	v_fmac_f32_e32 v10, 0x3f317217, v7
	v_cmp_lt_f32_e64 s[0:1], |v7|, s21
	v_cndmask_b32_e64 v7, v7, v10, s[0:1]
	v_mov_b32_e32 v10, 0x41b17218
	v_cndmask_b32_e32 v11, 0, v10, vcc
	v_sub_f32_e32 v7, v7, v11
	v_mul_f32_e32 v7, -2.0, v7
	s_mov_b32 s22, 0xf800000
	v_mul_f32_e32 v11, 0x4f800000, v7
	v_cmp_gt_f32_e32 vcc, s22, v7
	v_xor_b32_e32 v6, v8, v6
	v_cndmask_b32_e32 v7, v7, v11, vcc
	v_cvt_f32_u32_e32 v6, v6
	v_sqrt_f32_e32 v11, v7
	v_cvt_f32_u32_e32 v9, v9
	v_mov_b32_e32 v12, 0x2f000000
	v_mov_b32_e32 v8, 0x2f000000
	v_fmac_f32_e32 v12, 0x2f800000, v6
	v_add_u32_e32 v6, -1, v11
	v_fmac_f32_e32 v8, 0x2f800000, v9
	v_fma_f32 v9, -v6, v11, v7
	v_cmp_ge_f32_e64 s[0:1], 0, v9
	v_cndmask_b32_e64 v6, v11, v6, s[0:1]
	v_cmp_gt_f32_e64 s[0:1], s2, v12
	v_cndmask_b32_e64 v13, 0, 32, s[0:1]
	v_add_u32_e32 v9, 1, v11
	v_ldexp_f32 v12, v12, v13
	v_fma_f32 v11, -v9, v11, v7
	v_log_f32_e32 v12, v12
	v_cmp_lt_f32_e64 s[2:3], 0, v11
	v_cndmask_b32_e64 v6, v6, v9, s[2:3]
	v_mul_f32_e32 v9, 0x37800000, v6
	v_cndmask_b32_e32 v6, v6, v9, vcc
	v_mul_f32_e32 v9, 0x3f317217, v12
	v_fma_f32 v9, v12, s20, -v9
	v_fmac_f32_e32 v9, 0x3377d1cf, v12
	v_fmac_f32_e32 v9, 0x3f317217, v12
	v_cmp_lt_f32_e64 vcc, |v12|, s21
	v_cndmask_b32_e32 v9, v12, v9, vcc
	v_cndmask_b32_e64 v10, 0, v10, s[0:1]
	v_sub_f32_e32 v9, v9, v10
	v_mul_f32_e32 v9, -2.0, v9
	v_mul_f32_e32 v10, 0x4f800000, v9
	v_cmp_gt_f32_e32 vcc, s22, v9
	v_cndmask_b32_e32 v9, v9, v10, vcc
	v_sqrt_f32_e32 v10, v9
	v_mov_b32_e32 v11, 0x260
	v_cmp_class_f32_e64 s[0:1], v7, v11
	v_cndmask_b32_e64 v6, v6, v7, s[0:1]
	v_add_u32_e32 v7, -1, v10
	v_fma_f32 v12, -v7, v10, v9
	v_cmp_ge_f32_e64 s[0:1], 0, v12
	v_add_u32_e32 v12, 1, v10
	v_cndmask_b32_e64 v7, v10, v7, s[0:1]
	v_fma_f32 v10, -v12, v10, v9
	v_cmp_lt_f32_e64 s[0:1], 0, v10
	v_cndmask_b32_e64 v7, v7, v12, s[0:1]
	v_mul_f32_e32 v10, 0x37800000, v7
	v_mul_f32_e32 v1, 0x40c90fdb, v1
	;; [unrolled: 1-line block ×3, first 2 shown]
	v_cndmask_b32_e32 v7, v7, v10, vcc
	v_cmp_class_f32_e32 vcc, v9, v11
	v_mul_f32_e32 v1, 0.15915494, v1
	v_mul_f32_e32 v8, 0.15915494, v8
	v_cndmask_b32_e32 v7, v7, v9, vcc
	v_sin_f32_e32 v9, v1
	v_cos_f32_e32 v10, v8
	v_sin_f32_e32 v8, v8
	v_cos_f32_e32 v1, v1
	v_mul_f32_e32 v9, v9, v6
	v_mul_f32_e32 v10, v10, v7
	v_mul_f32_e32 v11, v8, v7
	v_mov_b32_e32 v12, s16
	v_fma_f32 v7, s17, v9, v12
	v_fma_f32 v8, s17, v10, v12
	;; [unrolled: 1-line block ×3, first 2 shown]
	v_lshlrev_b64 v[10:11], 4, v[4:5]
	v_mul_f32_e32 v1, v1, v6
	v_fma_f32 v6, s17, v1, v12
	v_mov_b32_e32 v1, s13
	v_add_co_u32_e32 v10, vcc, s12, v10
	v_addc_co_u32_e32 v11, vcc, v1, v11, vcc
	global_store_dwordx4 v[10:11], v[6:9], off
.LBB10_2:
	s_or_b64 exec, exec, s[14:15]
	v_cmp_eq_u64_e32 vcc, s[6:7], v[4:5]
	s_and_saveexec_b64 s[0:1], vcc
	s_cbranch_execz .LBB10_6
; %bb.3:
	s_load_dwordx2 s[0:1], s[4:5], 0x4
	s_lshl_b64 s[2:3], s[6:7], 2
	v_mov_b32_e32 v4, 0x2f000000
	s_waitcnt lgkmcnt(0)
	s_lshr_b32 s0, s0, 16
	s_mul_i32 s0, s0, s1
	v_mul_lo_u32 v0, s0, v0
	s_add_u32 s4, s10, s6
	s_addc_u32 s0, s11, s7
	s_mul_i32 s7, s4, 0xd2511f53
	s_mul_hi_u32 s5, s4, 0xd2511f53
	s_xor_b32 s4, s0, s8
	v_mad_u32_u24 v0, v3, s1, v0
	s_xor_b64 s[0:1], s[4:5], s[8:9]
	s_add_i32 s0, s8, 0x9e3779b9
	s_add_i32 s5, s9, 0xbb67ae85
	s_mul_i32 s11, s1, 0xcd9e8d57
	s_mul_hi_u32 s1, s1, 0xcd9e8d57
	s_mul_i32 s10, s4, 0xd2511f53
	s_mul_hi_u32 s4, s4, 0xd2511f53
	s_xor_b32 s0, s0, s1
	s_xor_b32 s1, s7, s5
	s_xor_b32 s1, s1, s4
	s_add_i32 s4, s8, 0x3c6ef372
	s_add_i32 s5, s9, 0x76cf5d0a
	s_mul_i32 s14, s1, 0xcd9e8d57
	s_mul_hi_u32 s1, s1, 0xcd9e8d57
	s_xor_b32 s4, s11, s4
	s_mul_i32 s7, s0, 0xd2511f53
	s_mul_hi_u32 s0, s0, 0xd2511f53
	s_xor_b32 s1, s4, s1
	s_xor_b32 s4, s10, s5
	s_xor_b32 s0, s4, s0
	s_add_i32 s4, s8, 0xdaa66d2b
	s_add_i32 s5, s9, 0x32370b8f
	s_mul_i32 s11, s0, 0xcd9e8d57
	s_mul_hi_u32 s0, s0, 0xcd9e8d57
	s_xor_b32 s4, s14, s4
	;; [unrolled: 10-line block ×6, first 2 shown]
	s_mul_i32 s10, s1, 0xd2511f53
	s_mul_hi_u32 s1, s1, 0xd2511f53
	s_xor_b32 s0, s4, s0
	s_xor_b32 s4, s7, s5
	;; [unrolled: 1-line block ×3, first 2 shown]
	s_add_i32 s4, s8, 0xf1bbcdc8
	s_add_i32 s6, s8, 0x8ff34781
	;; [unrolled: 1-line block ×3, first 2 shown]
	s_mul_i32 s8, s1, 0xcd9e8d57
	s_mul_hi_u32 s1, s1, 0xcd9e8d57
	s_xor_b32 s4, s11, s4
	s_mul_i32 s7, s0, 0xd2511f53
	s_mul_hi_u32 s0, s0, 0xd2511f53
	s_xor_b32 s1, s4, s1
	s_xor_b32 s4, s10, s5
	;; [unrolled: 1-line block ×3, first 2 shown]
	s_add_i32 s4, s9, 0x96a522ad
	s_mul_i32 s9, s0, 0xcd9e8d57
	s_mul_hi_u32 s0, s0, 0xcd9e8d57
	s_xor_b32 s6, s8, s6
	s_xor_b32 s0, s6, s0
	v_cvt_f32_u32_e32 v1, s0
	s_mul_i32 s5, s1, 0xd2511f53
	s_mul_hi_u32 s1, s1, 0xd2511f53
	s_xor_b32 s4, s7, s4
	v_fmac_f32_e32 v4, 0x2f800000, v1
	s_mov_b32 s6, 0x800000
	s_xor_b32 s4, s4, s1
	v_cmp_gt_f32_e32 vcc, s6, v4
	s_and_b64 s[0:1], vcc, exec
	s_cselect_b32 s0, 32, 0
	v_ldexp_f32 v4, v4, s0
	v_log_f32_e32 v4, v4
	v_cvt_f32_u32_e32 v3, s9
	v_cvt_f32_u32_e32 v6, s4
	s_mov_b32 s4, 0x3f317217
	v_mul_f32_e32 v8, 0x3f317217, v4
	v_mov_b32_e32 v1, 0x2f000000
	v_fma_f32 v8, v4, s4, -v8
	v_fmac_f32_e32 v1, 0x2f800000, v3
	v_mov_b32_e32 v3, 0x41b17218
	v_cvt_f32_u32_e32 v7, s5
	v_fmac_f32_e32 v8, 0x3377d1cf, v4
	s_mov_b32 s5, 0x7f800000
	v_cndmask_b32_e32 v5, 0, v3, vcc
	v_fmac_f32_e32 v8, 0x3f317217, v4
	v_cmp_lt_f32_e64 vcc, |v4|, s5
	v_cndmask_b32_e32 v4, v4, v8, vcc
	v_sub_f32_e32 v4, v4, v5
	v_mul_f32_e32 v4, -2.0, v4
	s_mov_b32 s7, 0xf800000
	v_mul_f32_e32 v5, 0x4f800000, v4
	v_cmp_gt_f32_e32 vcc, s7, v4
	v_cndmask_b32_e32 v4, v4, v5, vcc
	v_sqrt_f32_e32 v5, v4
	v_mov_b32_e32 v8, 0x2f000000
	v_add_lshl_u32 v0, v0, v2, 4
	v_mov_b32_e32 v2, 0x2f000000
	v_fmac_f32_e32 v8, 0x2f800000, v6
	v_add_u32_e32 v6, -1, v5
	v_fmac_f32_e32 v2, 0x2f800000, v7
	v_fma_f32 v7, -v6, v5, v4
	v_cmp_ge_f32_e64 s[0:1], 0, v7
	v_cndmask_b32_e64 v6, v5, v6, s[0:1]
	v_cmp_gt_f32_e64 s[0:1], s6, v8
	v_cndmask_b32_e64 v3, 0, v3, s[0:1]
	s_and_b64 s[0:1], s[0:1], exec
	s_cselect_b32 s0, 32, 0
	v_add_u32_e32 v7, 1, v5
	v_ldexp_f32 v8, v8, s0
	v_fma_f32 v5, -v7, v5, v4
	v_log_f32_e32 v8, v8
	v_cmp_lt_f32_e64 s[0:1], 0, v5
	v_cndmask_b32_e64 v5, v6, v7, s[0:1]
	v_mul_f32_e32 v6, 0x37800000, v5
	v_cndmask_b32_e32 v5, v5, v6, vcc
	v_mul_f32_e32 v6, 0x3f317217, v8
	v_fma_f32 v6, v8, s4, -v6
	v_fmac_f32_e32 v6, 0x3377d1cf, v8
	v_fmac_f32_e32 v6, 0x3f317217, v8
	v_cmp_lt_f32_e64 vcc, |v8|, s5
	v_cndmask_b32_e32 v6, v8, v6, vcc
	v_sub_f32_e32 v3, v6, v3
	v_mul_f32_e32 v3, -2.0, v3
	v_mul_f32_e32 v6, 0x4f800000, v3
	v_cmp_gt_f32_e32 vcc, s7, v3
	v_cndmask_b32_e32 v3, v3, v6, vcc
	v_sqrt_f32_e32 v6, v3
	v_mov_b32_e32 v7, 0x260
	v_cmp_class_f32_e64 s[0:1], v4, v7
	v_cndmask_b32_e64 v4, v5, v4, s[0:1]
	v_add_u32_e32 v5, -1, v6
	v_fma_f32 v8, -v5, v6, v3
	v_cmp_ge_f32_e64 s[0:1], 0, v8
	v_add_u32_e32 v8, 1, v6
	v_cndmask_b32_e64 v5, v6, v5, s[0:1]
	v_fma_f32 v6, -v8, v6, v3
	v_cmp_lt_f32_e64 s[0:1], 0, v6
	v_cndmask_b32_e64 v5, v5, v8, s[0:1]
	v_mul_f32_e32 v6, 0x37800000, v5
	v_mul_f32_e32 v1, 0x40c90fdb, v1
	;; [unrolled: 1-line block ×3, first 2 shown]
	v_cndmask_b32_e32 v5, v5, v6, vcc
	v_cmp_class_f32_e32 vcc, v3, v7
	v_mul_f32_e32 v1, 0.15915494, v1
	v_mul_f32_e32 v2, 0.15915494, v2
	v_cndmask_b32_e32 v5, v5, v3, vcc
	v_sin_f32_e32 v3, v1
	v_cos_f32_e32 v1, v1
	v_cos_f32_e32 v6, v2
	v_sin_f32_e32 v7, v2
	s_sub_u32 s0, s18, s2
	s_subb_u32 s1, s19, s3
	v_cmp_lt_i64_e64 s[4:5], s[0:1], 1
	v_mul_f32_e32 v1, v1, v4
	v_mul_f32_e32 v2, v3, v4
	;; [unrolled: 1-line block ×4, first 2 shown]
	s_and_b64 vcc, exec, s[4:5]
	ds_write_b128 v0, v[1:4]
	s_cbranch_vccnz .LBB10_6
; %bb.4:
	s_lshl_b64 s[2:3], s[2:3], 2
	s_add_u32 s2, s12, s2
	s_addc_u32 s3, s13, s3
	s_mov_b64 s[4:5], 0
	v_mov_b32_e32 v1, s16
	v_mov_b32_e32 v2, 0
.LBB10_5:                               ; =>This Inner Loop Header: Depth=1
	ds_read_b32 v5, v0
	s_add_u32 s4, s4, 1
	s_addc_u32 s5, s5, 0
	v_mov_b32_e32 v3, s4
	v_mov_b32_e32 v4, s5
	v_cmp_gt_i64_e32 vcc, s[0:1], v[3:4]
	s_waitcnt lgkmcnt(0)
	v_fma_f32 v3, s17, v5, v1
	global_store_dword v2, v3, s[2:3]
	s_add_u32 s2, s2, 4
	v_add_u32_e32 v0, 4, v0
	s_addc_u32 s3, s3, 0
	s_cbranch_vccnz .LBB10_5
.LBB10_6:
	s_endpgm
	.section	.rodata,"a",@progbits
	.p2align	6, 0x0
	.amdhsa_kernel _ZN2at6native12_GLOBAL__N_124philox_single_key_kernelIfZZZZNS0_20_philox_normal_cuda_ERNS_6TensorERKS3_ddENKUlvE_clEvENKUlvE0_clEvENKUlvE_clEvEUlmmE0_ZZZNS0_20_philox_normal_cuda_ES4_S6_ddENKS7_clEvENKS8_clEvEUlfE_EEvPT_PKmlT0_T1_
		.amdhsa_group_segment_fixed_size 16384
		.amdhsa_private_segment_fixed_size 0
		.amdhsa_kernarg_size 296
		.amdhsa_user_sgpr_count 8
		.amdhsa_user_sgpr_private_segment_buffer 1
		.amdhsa_user_sgpr_dispatch_ptr 1
		.amdhsa_user_sgpr_queue_ptr 0
		.amdhsa_user_sgpr_kernarg_segment_ptr 1
		.amdhsa_user_sgpr_dispatch_id 0
		.amdhsa_user_sgpr_flat_scratch_init 0
		.amdhsa_user_sgpr_private_segment_size 0
		.amdhsa_uses_dynamic_stack 0
		.amdhsa_system_sgpr_private_segment_wavefront_offset 0
		.amdhsa_system_sgpr_workgroup_id_x 1
		.amdhsa_system_sgpr_workgroup_id_y 0
		.amdhsa_system_sgpr_workgroup_id_z 0
		.amdhsa_system_sgpr_workgroup_info 0
		.amdhsa_system_vgpr_workitem_id 2
		.amdhsa_next_free_vgpr 14
		.amdhsa_next_free_sgpr 23
		.amdhsa_reserve_vcc 1
		.amdhsa_reserve_flat_scratch 0
		.amdhsa_float_round_mode_32 0
		.amdhsa_float_round_mode_16_64 0
		.amdhsa_float_denorm_mode_32 3
		.amdhsa_float_denorm_mode_16_64 3
		.amdhsa_dx10_clamp 1
		.amdhsa_ieee_mode 1
		.amdhsa_fp16_overflow 0
		.amdhsa_exception_fp_ieee_invalid_op 0
		.amdhsa_exception_fp_denorm_src 0
		.amdhsa_exception_fp_ieee_div_zero 0
		.amdhsa_exception_fp_ieee_overflow 0
		.amdhsa_exception_fp_ieee_underflow 0
		.amdhsa_exception_fp_ieee_inexact 0
		.amdhsa_exception_int_div_zero 0
	.end_amdhsa_kernel
	.section	.text._ZN2at6native12_GLOBAL__N_124philox_single_key_kernelIfZZZZNS0_20_philox_normal_cuda_ERNS_6TensorERKS3_ddENKUlvE_clEvENKUlvE0_clEvENKUlvE_clEvEUlmmE0_ZZZNS0_20_philox_normal_cuda_ES4_S6_ddENKS7_clEvENKS8_clEvEUlfE_EEvPT_PKmlT0_T1_,"axG",@progbits,_ZN2at6native12_GLOBAL__N_124philox_single_key_kernelIfZZZZNS0_20_philox_normal_cuda_ERNS_6TensorERKS3_ddENKUlvE_clEvENKUlvE0_clEvENKUlvE_clEvEUlmmE0_ZZZNS0_20_philox_normal_cuda_ES4_S6_ddENKS7_clEvENKS8_clEvEUlfE_EEvPT_PKmlT0_T1_,comdat
.Lfunc_end10:
	.size	_ZN2at6native12_GLOBAL__N_124philox_single_key_kernelIfZZZZNS0_20_philox_normal_cuda_ERNS_6TensorERKS3_ddENKUlvE_clEvENKUlvE0_clEvENKUlvE_clEvEUlmmE0_ZZZNS0_20_philox_normal_cuda_ES4_S6_ddENKS7_clEvENKS8_clEvEUlfE_EEvPT_PKmlT0_T1_, .Lfunc_end10-_ZN2at6native12_GLOBAL__N_124philox_single_key_kernelIfZZZZNS0_20_philox_normal_cuda_ERNS_6TensorERKS3_ddENKUlvE_clEvENKUlvE0_clEvENKUlvE_clEvEUlmmE0_ZZZNS0_20_philox_normal_cuda_ES4_S6_ddENKS7_clEvENKS8_clEvEUlfE_EEvPT_PKmlT0_T1_
                                        ; -- End function
	.set _ZN2at6native12_GLOBAL__N_124philox_single_key_kernelIfZZZZNS0_20_philox_normal_cuda_ERNS_6TensorERKS3_ddENKUlvE_clEvENKUlvE0_clEvENKUlvE_clEvEUlmmE0_ZZZNS0_20_philox_normal_cuda_ES4_S6_ddENKS7_clEvENKS8_clEvEUlfE_EEvPT_PKmlT0_T1_.num_vgpr, 14
	.set _ZN2at6native12_GLOBAL__N_124philox_single_key_kernelIfZZZZNS0_20_philox_normal_cuda_ERNS_6TensorERKS3_ddENKUlvE_clEvENKUlvE0_clEvENKUlvE_clEvEUlmmE0_ZZZNS0_20_philox_normal_cuda_ES4_S6_ddENKS7_clEvENKS8_clEvEUlfE_EEvPT_PKmlT0_T1_.num_agpr, 0
	.set _ZN2at6native12_GLOBAL__N_124philox_single_key_kernelIfZZZZNS0_20_philox_normal_cuda_ERNS_6TensorERKS3_ddENKUlvE_clEvENKUlvE0_clEvENKUlvE_clEvEUlmmE0_ZZZNS0_20_philox_normal_cuda_ES4_S6_ddENKS7_clEvENKS8_clEvEUlfE_EEvPT_PKmlT0_T1_.numbered_sgpr, 23
	.set _ZN2at6native12_GLOBAL__N_124philox_single_key_kernelIfZZZZNS0_20_philox_normal_cuda_ERNS_6TensorERKS3_ddENKUlvE_clEvENKUlvE0_clEvENKUlvE_clEvEUlmmE0_ZZZNS0_20_philox_normal_cuda_ES4_S6_ddENKS7_clEvENKS8_clEvEUlfE_EEvPT_PKmlT0_T1_.num_named_barrier, 0
	.set _ZN2at6native12_GLOBAL__N_124philox_single_key_kernelIfZZZZNS0_20_philox_normal_cuda_ERNS_6TensorERKS3_ddENKUlvE_clEvENKUlvE0_clEvENKUlvE_clEvEUlmmE0_ZZZNS0_20_philox_normal_cuda_ES4_S6_ddENKS7_clEvENKS8_clEvEUlfE_EEvPT_PKmlT0_T1_.private_seg_size, 0
	.set _ZN2at6native12_GLOBAL__N_124philox_single_key_kernelIfZZZZNS0_20_philox_normal_cuda_ERNS_6TensorERKS3_ddENKUlvE_clEvENKUlvE0_clEvENKUlvE_clEvEUlmmE0_ZZZNS0_20_philox_normal_cuda_ES4_S6_ddENKS7_clEvENKS8_clEvEUlfE_EEvPT_PKmlT0_T1_.uses_vcc, 1
	.set _ZN2at6native12_GLOBAL__N_124philox_single_key_kernelIfZZZZNS0_20_philox_normal_cuda_ERNS_6TensorERKS3_ddENKUlvE_clEvENKUlvE0_clEvENKUlvE_clEvEUlmmE0_ZZZNS0_20_philox_normal_cuda_ES4_S6_ddENKS7_clEvENKS8_clEvEUlfE_EEvPT_PKmlT0_T1_.uses_flat_scratch, 0
	.set _ZN2at6native12_GLOBAL__N_124philox_single_key_kernelIfZZZZNS0_20_philox_normal_cuda_ERNS_6TensorERKS3_ddENKUlvE_clEvENKUlvE0_clEvENKUlvE_clEvEUlmmE0_ZZZNS0_20_philox_normal_cuda_ES4_S6_ddENKS7_clEvENKS8_clEvEUlfE_EEvPT_PKmlT0_T1_.has_dyn_sized_stack, 0
	.set _ZN2at6native12_GLOBAL__N_124philox_single_key_kernelIfZZZZNS0_20_philox_normal_cuda_ERNS_6TensorERKS3_ddENKUlvE_clEvENKUlvE0_clEvENKUlvE_clEvEUlmmE0_ZZZNS0_20_philox_normal_cuda_ES4_S6_ddENKS7_clEvENKS8_clEvEUlfE_EEvPT_PKmlT0_T1_.has_recursion, 0
	.set _ZN2at6native12_GLOBAL__N_124philox_single_key_kernelIfZZZZNS0_20_philox_normal_cuda_ERNS_6TensorERKS3_ddENKUlvE_clEvENKUlvE0_clEvENKUlvE_clEvEUlmmE0_ZZZNS0_20_philox_normal_cuda_ES4_S6_ddENKS7_clEvENKS8_clEvEUlfE_EEvPT_PKmlT0_T1_.has_indirect_call, 0
	.section	.AMDGPU.csdata,"",@progbits
; Kernel info:
; codeLenInByte = 2696
; TotalNumSgprs: 27
; NumVgprs: 14
; ScratchSize: 0
; MemoryBound: 0
; FloatMode: 240
; IeeeMode: 1
; LDSByteSize: 16384 bytes/workgroup (compile time only)
; SGPRBlocks: 3
; VGPRBlocks: 3
; NumSGPRsForWavesPerEU: 27
; NumVGPRsForWavesPerEU: 14
; Occupancy: 8
; WaveLimiterHint : 0
; COMPUTE_PGM_RSRC2:SCRATCH_EN: 0
; COMPUTE_PGM_RSRC2:USER_SGPR: 8
; COMPUTE_PGM_RSRC2:TRAP_HANDLER: 0
; COMPUTE_PGM_RSRC2:TGID_X_EN: 1
; COMPUTE_PGM_RSRC2:TGID_Y_EN: 0
; COMPUTE_PGM_RSRC2:TGID_Z_EN: 0
; COMPUTE_PGM_RSRC2:TIDIG_COMP_CNT: 2
	.section	.text._ZN2at6native12_GLOBAL__N_123philox_multi_key_kernelIfZZZZNS0_20_philox_normal_cuda_ERNS_6TensorERKS3_ddENKUlvE_clEvENKUlvE0_clEvENKUlvE_clEvEUlmmE0_ZZZNS0_20_philox_normal_cuda_ES4_S6_ddENKS7_clEvENKS8_clEvEUlfE_EEvPT_PKmllT0_T1_16OffsetCalculatorILi1EjLb0EE,"axG",@progbits,_ZN2at6native12_GLOBAL__N_123philox_multi_key_kernelIfZZZZNS0_20_philox_normal_cuda_ERNS_6TensorERKS3_ddENKUlvE_clEvENKUlvE0_clEvENKUlvE_clEvEUlmmE0_ZZZNS0_20_philox_normal_cuda_ES4_S6_ddENKS7_clEvENKS8_clEvEUlfE_EEvPT_PKmllT0_T1_16OffsetCalculatorILi1EjLb0EE,comdat
	.globl	_ZN2at6native12_GLOBAL__N_123philox_multi_key_kernelIfZZZZNS0_20_philox_normal_cuda_ERNS_6TensorERKS3_ddENKUlvE_clEvENKUlvE0_clEvENKUlvE_clEvEUlmmE0_ZZZNS0_20_philox_normal_cuda_ES4_S6_ddENKS7_clEvENKS8_clEvEUlfE_EEvPT_PKmllT0_T1_16OffsetCalculatorILi1EjLb0EE ; -- Begin function _ZN2at6native12_GLOBAL__N_123philox_multi_key_kernelIfZZZZNS0_20_philox_normal_cuda_ERNS_6TensorERKS3_ddENKUlvE_clEvENKUlvE0_clEvENKUlvE_clEvEUlmmE0_ZZZNS0_20_philox_normal_cuda_ES4_S6_ddENKS7_clEvENKS8_clEvEUlfE_EEvPT_PKmllT0_T1_16OffsetCalculatorILi1EjLb0EE
	.p2align	8
	.type	_ZN2at6native12_GLOBAL__N_123philox_multi_key_kernelIfZZZZNS0_20_philox_normal_cuda_ERNS_6TensorERKS3_ddENKUlvE_clEvENKUlvE0_clEvENKUlvE_clEvEUlmmE0_ZZZNS0_20_philox_normal_cuda_ES4_S6_ddENKS7_clEvENKS8_clEvEUlfE_EEvPT_PKmllT0_T1_16OffsetCalculatorILi1EjLb0EE,@function
_ZN2at6native12_GLOBAL__N_123philox_multi_key_kernelIfZZZZNS0_20_philox_normal_cuda_ERNS_6TensorERKS3_ddENKUlvE_clEvENKUlvE0_clEvENKUlvE_clEvEUlmmE0_ZZZNS0_20_philox_normal_cuda_ES4_S6_ddENKS7_clEvENKS8_clEvEUlfE_EEvPT_PKmllT0_T1_16OffsetCalculatorILi1EjLb0EE: ; @_ZN2at6native12_GLOBAL__N_123philox_multi_key_kernelIfZZZZNS0_20_philox_normal_cuda_ERNS_6TensorERKS3_ddENKUlvE_clEvENKUlvE0_clEvENKUlvE_clEvEUlmmE0_ZZZNS0_20_philox_normal_cuda_ES4_S6_ddENKS7_clEvENKS8_clEvEUlfE_EEvPT_PKmllT0_T1_16OffsetCalculatorILi1EjLb0EE
; %bb.0:
	s_load_dwordx4 s[16:19], s[4:5], 0x10
	s_load_dword s2, s[4:5], 0x13c
	v_mov_b32_e32 v4, 0
	v_mov_b32_e32 v1, v4
	;; [unrolled: 1-line block ×3, first 2 shown]
	s_waitcnt lgkmcnt(0)
	s_add_u32 s0, s18, 3
	s_addc_u32 s1, s19, 0
	s_ashr_i32 s3, s1, 31
	s_lshr_b32 s3, s3, 30
	s_add_u32 s0, s0, s3
	s_addc_u32 s1, s1, 0
	s_ashr_i64 s[24:25], s[0:1], 2
	s_mul_i32 s0, s24, s17
	s_mul_hi_u32 s1, s24, s16
	s_add_i32 s3, s1, s0
	s_and_b32 s0, s2, 0xffff
	v_mad_u64_u32 v[2:3], s[0:1], s0, v2, v[0:1]
	s_mul_i32 s0, s25, s16
	s_add_i32 s1, s3, s0
	s_mul_i32 s0, s24, s16
	v_cmp_gt_i64_e32 vcc, s[0:1], v[2:3]
	s_and_saveexec_b64 s[0:1], vcc
	s_cbranch_execz .LBB11_23
; %bb.1:
	v_or_b32_e32 v5, s25, v3
	v_cmp_ne_u64_e32 vcc, 0, v[4:5]
                                        ; implicit-def: $vgpr0_vgpr1
	s_and_saveexec_b64 s[0:1], vcc
	s_xor_b64 s[2:3], exec, s[0:1]
	s_cbranch_execz .LBB11_3
; %bb.2:
	s_ashr_i32 s6, s25, 31
	s_add_u32 s0, s24, s6
	s_mov_b32 s7, s6
	s_addc_u32 s1, s25, s6
	s_xor_b64 s[8:9], s[0:1], s[6:7]
	v_cvt_f32_u32_e32 v0, s8
	v_cvt_f32_u32_e32 v1, s9
	s_sub_u32 s7, 0, s8
	s_subb_u32 s10, 0, s9
	v_ashrrev_i32_e32 v6, 31, v3
	v_madmk_f32 v0, v1, 0x4f800000, v0
	v_rcp_f32_e32 v0, v0
	v_mul_f32_e32 v0, 0x5f7ffffc, v0
	v_mul_f32_e32 v1, 0x2f800000, v0
	v_trunc_f32_e32 v1, v1
	v_madmk_f32 v0, v1, 0xcf800000, v0
	v_cvt_u32_f32_e32 v1, v1
	v_cvt_u32_f32_e32 v0, v0
	v_readfirstlane_b32 s11, v1
	v_readfirstlane_b32 s0, v0
	s_mul_i32 s1, s7, s11
	s_mul_hi_u32 s13, s7, s0
	s_mul_i32 s12, s10, s0
	s_add_i32 s1, s13, s1
	s_add_i32 s1, s1, s12
	s_mul_i32 s14, s7, s0
	s_mul_i32 s13, s0, s1
	s_mul_hi_u32 s15, s0, s14
	s_mul_hi_u32 s12, s0, s1
	s_add_u32 s13, s15, s13
	s_addc_u32 s12, 0, s12
	s_mul_hi_u32 s16, s11, s14
	s_mul_i32 s14, s11, s14
	s_add_u32 s13, s13, s14
	s_mul_hi_u32 s15, s11, s1
	s_addc_u32 s12, s12, s16
	s_addc_u32 s13, s15, 0
	s_mul_i32 s1, s11, s1
	s_add_u32 s1, s12, s1
	s_addc_u32 s12, 0, s13
	s_add_u32 s13, s0, s1
	s_cselect_b64 s[0:1], -1, 0
	s_cmp_lg_u64 s[0:1], 0
	s_addc_u32 s11, s11, s12
	s_mul_i32 s0, s7, s11
	s_mul_hi_u32 s1, s7, s13
	s_add_i32 s0, s1, s0
	s_mul_i32 s10, s10, s13
	s_add_i32 s0, s0, s10
	s_mul_i32 s7, s7, s13
	s_mul_hi_u32 s10, s11, s7
	s_mul_i32 s12, s11, s7
	s_mul_i32 s15, s13, s0
	s_mul_hi_u32 s7, s13, s7
	s_mul_hi_u32 s14, s13, s0
	s_add_u32 s7, s7, s15
	s_addc_u32 s14, 0, s14
	s_add_u32 s7, s7, s12
	s_mul_hi_u32 s1, s11, s0
	s_addc_u32 s7, s14, s10
	s_addc_u32 s1, s1, 0
	s_mul_i32 s0, s11, s0
	s_add_u32 s0, s7, s0
	s_addc_u32 s7, 0, s1
	s_add_u32 s10, s13, s0
	s_cselect_b64 s[0:1], -1, 0
	s_cmp_lg_u64 s[0:1], 0
	v_add_co_u32_e32 v0, vcc, v2, v6
	s_addc_u32 s7, s11, s7
	v_xor_b32_e32 v7, v0, v6
	v_mad_u64_u32 v[0:1], s[0:1], v7, s7, 0
	v_mul_hi_u32 v5, v7, s10
	v_addc_co_u32_e32 v4, vcc, v3, v6, vcc
	v_xor_b32_e32 v8, v4, v6
	v_add_co_u32_e32 v9, vcc, v5, v0
	v_addc_co_u32_e32 v10, vcc, 0, v1, vcc
	v_mad_u64_u32 v[0:1], s[0:1], v8, s10, 0
	v_mad_u64_u32 v[4:5], s[0:1], v8, s7, 0
	v_add_co_u32_e32 v0, vcc, v9, v0
	v_addc_co_u32_e32 v0, vcc, v10, v1, vcc
	v_addc_co_u32_e32 v1, vcc, 0, v5, vcc
	v_add_co_u32_e32 v4, vcc, v0, v4
	v_addc_co_u32_e32 v5, vcc, 0, v1, vcc
	v_mul_lo_u32 v9, s9, v4
	v_mul_lo_u32 v10, s8, v5
	v_mad_u64_u32 v[0:1], s[0:1], s8, v4, 0
	v_add3_u32 v1, v1, v10, v9
	v_sub_u32_e32 v9, v8, v1
	v_mov_b32_e32 v10, s9
	v_sub_co_u32_e32 v0, vcc, v7, v0
	v_subb_co_u32_e64 v7, s[0:1], v9, v10, vcc
	v_subrev_co_u32_e64 v9, s[0:1], s8, v0
	v_subbrev_co_u32_e64 v7, s[0:1], 0, v7, s[0:1]
	v_cmp_le_u32_e64 s[0:1], s9, v7
	v_cndmask_b32_e64 v10, 0, -1, s[0:1]
	v_cmp_le_u32_e64 s[0:1], s8, v9
	v_cndmask_b32_e64 v9, 0, -1, s[0:1]
	v_cmp_eq_u32_e64 s[0:1], s9, v7
	v_cndmask_b32_e64 v7, v10, v9, s[0:1]
	v_add_co_u32_e64 v9, s[0:1], 2, v4
	v_subb_co_u32_e32 v1, vcc, v8, v1, vcc
	v_addc_co_u32_e64 v10, s[0:1], 0, v5, s[0:1]
	v_cmp_le_u32_e32 vcc, s9, v1
	v_add_co_u32_e64 v11, s[0:1], 1, v4
	v_cndmask_b32_e64 v8, 0, -1, vcc
	v_cmp_le_u32_e32 vcc, s8, v0
	v_addc_co_u32_e64 v12, s[0:1], 0, v5, s[0:1]
	v_cndmask_b32_e64 v0, 0, -1, vcc
	v_cmp_eq_u32_e32 vcc, s9, v1
	v_cmp_ne_u32_e64 s[0:1], 0, v7
	v_cndmask_b32_e32 v0, v8, v0, vcc
	v_cndmask_b32_e64 v7, v12, v10, s[0:1]
	v_cmp_ne_u32_e32 vcc, 0, v0
	v_cndmask_b32_e64 v1, v11, v9, s[0:1]
	v_cndmask_b32_e32 v0, v5, v7, vcc
	v_cndmask_b32_e32 v1, v4, v1, vcc
	v_xor_b32_e32 v4, s6, v6
	v_xor_b32_e32 v5, v0, v4
	;; [unrolled: 1-line block ×3, first 2 shown]
	v_sub_co_u32_e32 v0, vcc, v0, v4
	v_subb_co_u32_e32 v1, vcc, v5, v4, vcc
.LBB11_3:
	s_andn2_saveexec_b64 s[0:1], s[2:3]
	s_cbranch_execz .LBB11_5
; %bb.4:
	v_cvt_f32_u32_e32 v0, s24
	s_sub_i32 s2, 0, s24
	v_rcp_iflag_f32_e32 v0, v0
	v_mul_f32_e32 v0, 0x4f7ffffe, v0
	v_cvt_u32_f32_e32 v0, v0
	v_mul_lo_u32 v1, s2, v0
	v_mul_hi_u32 v1, v0, v1
	v_add_u32_e32 v0, v0, v1
	v_mul_hi_u32 v0, v2, v0
	v_mul_lo_u32 v1, v0, s24
	v_add_u32_e32 v4, 1, v0
	v_sub_u32_e32 v1, v2, v1
	v_subrev_u32_e32 v5, s24, v1
	v_cmp_le_u32_e32 vcc, s24, v1
	v_cndmask_b32_e32 v1, v1, v5, vcc
	v_cndmask_b32_e32 v0, v0, v4, vcc
	v_add_u32_e32 v4, 1, v0
	v_cmp_le_u32_e32 vcc, s24, v1
	v_cndmask_b32_e32 v0, v0, v4, vcc
	v_mov_b32_e32 v1, 0
.LBB11_5:
	s_or_b64 exec, exec, s[0:1]
	s_load_dword s33, s[4:5], 0x2c
	s_load_dwordx2 s[16:17], s[4:5], 0x8
	s_load_dwordx2 s[6:7], s[4:5], 0x24
	s_add_u32 s26, s4, 44
	s_addc_u32 s27, s5, 0
	s_waitcnt lgkmcnt(0)
	s_add_i32 s0, s33, -1
	s_cmp_lt_u32 s0, 2
	s_cbranch_scc1 .LBB11_11
; %bb.6:
	s_cmp_lg_u32 s33, 0
	s_mov_b32 s34, 0
	s_cbranch_scc0 .LBB11_12
; %bb.7:
	s_min_u32 s35, s0, 15
	s_add_i32 s35, s35, 1
	s_cmp_eq_u32 s0, 2
	s_cbranch_scc1 .LBB11_13
; %bb.8:
	s_and_b32 s34, s35, 28
	s_add_u32 s28, s26, 0xc4
	s_addc_u32 s29, s27, 0
	s_mov_b32 s36, 0
	v_mov_b32_e32 v4, 0
	s_mov_b64 s[30:31], s[26:27]
	v_mov_b32_e32 v5, v0
.LBB11_9:                               ; =>This Inner Loop Header: Depth=1
	s_load_dwordx8 s[8:15], s[30:31], 0x4
	s_load_dwordx4 s[0:3], s[30:31], 0x24
	s_load_dwordx4 s[20:23], s[28:29], 0x0
	s_add_u32 s30, s30, 48
	s_addc_u32 s31, s31, 0
	s_waitcnt lgkmcnt(0)
	v_mul_hi_u32 v6, s9, v5
	s_add_i32 s36, s36, 4
	s_add_u32 s28, s28, 16
	s_addc_u32 s29, s29, 0
	v_add_u32_e32 v6, v5, v6
	v_lshrrev_b32_e32 v6, s10, v6
	v_mul_lo_u32 v7, v6, s8
	v_mul_hi_u32 v8, s12, v6
	s_cmp_lg_u32 s34, s36
	v_sub_u32_e32 v5, v5, v7
	v_add_u32_e32 v7, v6, v8
	v_lshrrev_b32_e32 v7, s13, v7
	v_mul_lo_u32 v8, v5, s20
	v_mul_hi_u32 v5, s15, v7
	v_mul_lo_u32 v10, v7, s11
	v_add_u32_e32 v5, v7, v5
	v_lshrrev_b32_e32 v9, s0, v5
	v_mul_hi_u32 v5, s2, v9
	v_sub_u32_e32 v6, v6, v10
	v_mul_lo_u32 v10, v9, s14
	v_mul_lo_u32 v6, v6, s21
	v_add_u32_e32 v5, v9, v5
	v_lshrrev_b32_e32 v5, s3, v5
	v_mul_lo_u32 v11, v5, s1
	v_sub_u32_e32 v7, v7, v10
	v_mul_lo_u32 v7, v7, s22
	v_add3_u32 v4, v8, v4, v6
	v_sub_u32_e32 v9, v9, v11
	v_mul_lo_u32 v9, v9, s23
	v_add3_u32 v4, v7, v4, v9
	s_cbranch_scc1 .LBB11_9
; %bb.10:
	s_and_b32 s8, s35, 3
	s_cmp_eq_u32 s8, 0
	s_cbranch_scc0 .LBB11_14
	s_branch .LBB11_16
.LBB11_11:
                                        ; implicit-def: $vgpr4
	s_load_dwordx2 s[4:5], s[4:5], 0x0
	s_branch .LBB11_17
.LBB11_12:
	v_mov_b32_e32 v4, 0
	s_branch .LBB11_16
.LBB11_13:
	v_mov_b32_e32 v4, 0
	v_mov_b32_e32 v5, v0
	s_and_b32 s8, s35, 3
	s_cmp_eq_u32 s8, 0
	s_cbranch_scc1 .LBB11_16
.LBB11_14:
	s_lshl_b32 s0, s34, 2
	s_add_u32 s0, s26, s0
	s_addc_u32 s1, s27, 0
	s_add_u32 s0, s0, 0xc4
	s_addc_u32 s1, s1, 0
	s_mul_i32 s2, s34, 12
	s_add_u32 s2, s26, s2
	s_addc_u32 s3, s27, 0
.LBB11_15:                              ; =>This Inner Loop Header: Depth=1
	s_load_dwordx2 s[10:11], s[2:3], 0x4
	s_load_dword s9, s[2:3], 0xc
	s_add_u32 s2, s2, 12
	s_addc_u32 s3, s3, 0
	s_waitcnt lgkmcnt(0)
	v_mul_hi_u32 v6, s11, v5
	s_load_dword s11, s[0:1], 0x0
	s_add_u32 s0, s0, 4
	s_addc_u32 s1, s1, 0
	v_add_u32_e32 v6, v5, v6
	v_lshrrev_b32_e32 v6, s9, v6
	v_mul_lo_u32 v7, v6, s10
	s_add_i32 s8, s8, -1
	s_cmp_lg_u32 s8, 0
	v_sub_u32_e32 v5, v5, v7
	s_waitcnt lgkmcnt(0)
	v_mad_u64_u32 v[4:5], s[10:11], v5, s11, v[4:5]
	v_mov_b32_e32 v5, v6
	s_cbranch_scc1 .LBB11_15
.LBB11_16:
	s_load_dwordx2 s[4:5], s[4:5], 0x0
	s_cbranch_execnz .LBB11_19
.LBB11_17:
	s_load_dwordx4 s[0:3], s[26:27], 0x4
	s_waitcnt lgkmcnt(0)
	s_load_dword s3, s[26:27], 0xc4
	s_cmp_lt_u32 s33, 2
	v_mul_hi_u32 v4, v0, s1
	v_add_u32_e32 v4, v4, v0
	v_lshrrev_b32_e32 v5, s2, v4
	v_mul_lo_u32 v4, v5, s0
	v_sub_u32_e32 v4, v0, v4
	s_waitcnt lgkmcnt(0)
	v_mul_lo_u32 v4, v4, s3
	s_cbranch_scc1 .LBB11_19
; %bb.18:
	s_load_dwordx4 s[0:3], s[26:27], 0x10
	s_waitcnt lgkmcnt(0)
	s_load_dword s3, s[26:27], 0xc8
                                        ; kill: killed $sgpr26 killed $sgpr27
	v_mul_hi_u32 v6, s1, v5
	v_add_u32_e32 v6, v5, v6
	v_lshrrev_b32_e32 v6, s2, v6
	v_mul_lo_u32 v6, v6, s0
	v_sub_u32_e32 v5, v5, v6
	s_waitcnt lgkmcnt(0)
	v_mad_u64_u32 v[4:5], s[0:1], v5, s3, v[4:5]
.LBB11_19:
	v_mov_b32_e32 v5, 0
	v_lshlrev_b64 v[6:7], 3, v[4:5]
	v_add_u32_e32 v4, 1, v4
	v_mov_b32_e32 v8, s17
	v_add_co_u32_e32 v6, vcc, s16, v6
	v_lshlrev_b64 v[4:5], 3, v[4:5]
	v_addc_co_u32_e32 v7, vcc, v8, v7, vcc
	v_add_co_u32_e32 v4, vcc, s16, v4
	v_addc_co_u32_e32 v5, vcc, v8, v5, vcc
	global_load_dwordx2 v[6:7], v[6:7], off
	v_mul_lo_u32 v8, v1, s24
	global_load_dwordx2 v[13:14], v[4:5], off
	v_mul_lo_u32 v9, v0, s25
	v_mad_u64_u32 v[4:5], s[0:1], v0, s24, 0
	s_mov_b32 s0, 0xd2511f53
	s_mov_b32 s1, 0xcd9e8d57
	v_add3_u32 v5, v5, v9, v8
	v_sub_co_u32_e32 v2, vcc, v2, v4
	v_subb_co_u32_e32 v3, vcc, v3, v5, vcc
	s_mov_b32 s2, 0x800000
	s_mov_b32 s8, 0x3f317217
	;; [unrolled: 1-line block ×5, first 2 shown]
	s_waitcnt vmcnt(1)
	v_add_u32_e32 v20, 0xbb67ae85, v7
	v_add_u32_e32 v22, 0x76cf5d0a, v7
	s_waitcnt vmcnt(0)
	v_add_co_u32_e32 v23, vcc, v13, v2
	v_mul_hi_u32 v15, v23, s0
	v_mul_lo_u32 v23, v23, s0
	v_addc_co_u32_e32 v14, vcc, v14, v3, vcc
	v_xor_b32_e32 v14, v14, v6
	v_xor_b32_e32 v20, v23, v20
	v_mul_hi_u32 v23, v14, s0
	v_mul_lo_u32 v14, v14, s0
	v_xor_b32_e32 v24, v15, v7
	v_add_u32_e32 v19, 0x9e3779b9, v6
	v_xor_b32_e32 v20, v20, v23
	v_xor_b32_e32 v22, v14, v22
	v_mul_hi_u32 v14, v24, s1
	v_mul_lo_u32 v23, v24, s1
	v_add_u32_e32 v21, 0x3c6ef372, v6
	v_mul_hi_u32 v24, v20, s1
	v_xor_b32_e32 v19, v19, v14
	v_xor_b32_e32 v21, v23, v21
	v_mul_hi_u32 v23, v19, s0
	v_mul_lo_u32 v20, v20, s1
	v_xor_b32_e32 v21, v21, v24
	v_add_u32_e32 v18, 0xdaa66d2b, v6
	v_xor_b32_e32 v22, v22, v23
	v_mul_hi_u32 v23, v21, s0
	v_mul_lo_u32 v21, v21, s0
	v_xor_b32_e32 v20, v20, v18
	v_mul_lo_u32 v18, v19, s0
	v_add_u32_e32 v16, 0xed9eba14, v7
	v_xor_b32_e32 v16, v21, v16
	v_mul_hi_u32 v21, v22, s1
	v_add_u32_e32 v17, 0x32370b8f, v7
	v_xor_b32_e32 v18, v18, v17
	v_xor_b32_e32 v23, v18, v23
	v_mul_lo_u32 v22, v22, s1
	v_xor_b32_e32 v20, v20, v21
	v_mul_hi_u32 v21, v23, s1
	v_mul_lo_u32 v23, v23, s1
	v_add_u32_e32 v12, 0x78dde6e4, v6
	v_xor_b32_e32 v22, v22, v12
	v_add_u32_e32 v9, 0x1715609d, v6
	v_xor_b32_e32 v21, v22, v21
	v_mul_hi_u32 v22, v20, s0
	v_mul_lo_u32 v20, v20, s0
	v_xor_b32_e32 v9, v23, v9
	v_mul_hi_u32 v23, v21, s0
	v_mul_lo_u32 v21, v21, s0
	v_add_u32_e32 v5, 0xa9066899, v7
	v_xor_b32_e32 v16, v16, v22
	v_xor_b32_e32 v5, v20, v5
	v_add_u32_e32 v11, 0x646e171e, v7
	v_xor_b32_e32 v5, v5, v23
	v_mul_hi_u32 v20, v16, s1
	v_xor_b32_e32 v11, v21, v11
	v_mul_hi_u32 v21, v5, s1
	v_mul_lo_u32 v5, v5, s1
	v_add_u32_e32 v13, 0x5384540f, v6
	v_xor_b32_e32 v9, v9, v20
	v_mul_lo_u32 v16, v16, s1
	v_xor_b32_e32 v5, v5, v13
	v_mul_hi_u32 v13, v9, s0
	v_mul_lo_u32 v9, v9, s0
	v_add_u32_e32 v8, 0xb54cda56, v6
	v_add_u32_e32 v10, 0x1fd5c5a3, v7
	v_xor_b32_e32 v8, v16, v8
	v_xor_b32_e32 v11, v11, v13
	;; [unrolled: 1-line block ×4, first 2 shown]
	v_mul_hi_u32 v10, v11, s1
	v_mul_hi_u32 v16, v8, s0
	v_mul_lo_u32 v8, v8, s0
	v_add_u32_e32 v15, 0xdb3d7428, v7
	v_xor_b32_e32 v5, v5, v10
	v_xor_b32_e32 v9, v9, v16
	v_mul_hi_u32 v10, v5, s0
	v_mul_hi_u32 v13, v9, s1
	v_mul_lo_u32 v9, v9, s1
	v_xor_b32_e32 v8, v8, v15
	v_add_u32_e32 v4, 0x8ff34781, v6
	v_xor_b32_e32 v8, v8, v10
	v_xor_b32_e32 v4, v9, v4
	v_mul_hi_u32 v9, v8, s1
	v_mov_b32_e32 v19, 0x2f000000
	v_mul_lo_u32 v11, v11, s1
	v_mul_lo_u32 v5, v5, s0
	v_xor_b32_e32 v4, v4, v9
	v_cvt_f32_u32_e32 v4, v4
	v_add_u32_e32 v6, 0xf1bbcdc8, v6
	v_add_u32_e32 v7, 0x96a522ad, v7
	v_mov_b32_e32 v12, 0x41b17218
	v_fmac_f32_e32 v19, 0x2f800000, v4
	v_cmp_gt_f32_e32 vcc, s2, v19
	v_cndmask_b32_e64 v4, 0, 32, vcc
	v_ldexp_f32 v4, v19, v4
	v_log_f32_e32 v4, v4
	v_xor_b32_e32 v6, v11, v6
	v_xor_b32_e32 v6, v6, v13
	;; [unrolled: 1-line block ×3, first 2 shown]
	v_mul_f32_e32 v9, 0x3f317217, v4
	v_fma_f32 v9, v4, s8, -v9
	v_fmac_f32_e32 v9, 0x3377d1cf, v4
	v_mul_lo_u32 v7, v8, s1
	v_cndmask_b32_e32 v8, 0, v12, vcc
	v_fmac_f32_e32 v9, 0x3f317217, v4
	v_cmp_lt_f32_e64 vcc, |v4|, s10
	v_mul_hi_u32 v10, v6, s0
	v_cndmask_b32_e32 v4, v4, v9, vcc
	v_sub_f32_e32 v4, v4, v8
	v_mul_f32_e32 v4, -2.0, v4
	v_mul_f32_e32 v8, 0x4f800000, v4
	v_cmp_gt_f32_e32 vcc, s11, v4
	v_xor_b32_e32 v5, v5, v10
	v_cndmask_b32_e32 v4, v4, v8, vcc
	v_cvt_f32_u32_e32 v5, v5
	v_sqrt_f32_e32 v8, v4
	v_mul_lo_u32 v6, v6, s0
	v_cvt_f32_u32_e32 v7, v7
	v_mov_b32_e32 v18, 0x2f000000
	v_mov_b32_e32 v17, 0x2f000000
	v_fmac_f32_e32 v18, 0x2f800000, v5
	v_add_u32_e32 v5, -1, v8
	v_cvt_f32_u32_e32 v6, v6
	v_fmac_f32_e32 v17, 0x2f800000, v7
	v_fma_f32 v7, -v5, v8, v4
	v_cmp_ge_f32_e64 s[0:1], 0, v7
	v_cndmask_b32_e64 v5, v8, v5, s[0:1]
	v_cmp_gt_f32_e64 s[0:1], s2, v18
	v_mov_b32_e32 v14, 0x2f000000
	v_cndmask_b32_e64 v7, 0, 32, s[0:1]
	v_fmac_f32_e32 v14, 0x2f800000, v6
	v_add_u32_e32 v6, 1, v8
	v_ldexp_f32 v7, v18, v7
	v_fma_f32 v9, -v6, v8, v4
	v_log_f32_e32 v7, v7
	v_cmp_lt_f32_e64 s[2:3], 0, v9
	v_cndmask_b32_e64 v5, v5, v6, s[2:3]
	v_mul_f32_e32 v6, 0x37800000, v5
	v_cndmask_b32_e32 v5, v5, v6, vcc
	v_mul_f32_e32 v6, 0x3f317217, v7
	v_fma_f32 v6, v7, s8, -v6
	v_fmac_f32_e32 v6, 0x3377d1cf, v7
	v_fmac_f32_e32 v6, 0x3f317217, v7
	v_cmp_lt_f32_e64 vcc, |v7|, s10
	v_cndmask_b32_e32 v6, v7, v6, vcc
	v_cndmask_b32_e64 v7, 0, v12, s[0:1]
	v_sub_f32_e32 v6, v6, v7
	v_mul_f32_e32 v6, -2.0, v6
	v_mul_f32_e32 v7, 0x4f800000, v6
	v_cmp_gt_f32_e32 vcc, s11, v6
	v_cndmask_b32_e32 v6, v6, v7, vcc
	v_sqrt_f32_e32 v7, v6
	v_mov_b32_e32 v8, 0x260
	v_cmp_class_f32_e64 s[0:1], v4, v8
	v_cndmask_b32_e64 v4, v5, v4, s[0:1]
	v_add_u32_e32 v5, -1, v7
	v_fma_f32 v9, -v5, v7, v6
	v_cmp_ge_f32_e64 s[0:1], 0, v9
	v_add_u32_e32 v9, 1, v7
	v_cndmask_b32_e64 v5, v7, v5, s[0:1]
	v_fma_f32 v7, -v9, v7, v6
	v_cmp_lt_f32_e64 s[0:1], 0, v7
	v_cndmask_b32_e64 v5, v5, v9, s[0:1]
	v_mul_f32_e32 v7, 0x37800000, v5
	v_cndmask_b32_e32 v5, v5, v7, vcc
	v_mul_f32_e32 v7, 0x40c90fdb, v17
	v_mul_f32_e32 v7, 0.15915494, v7
	v_sin_f32_e32 v9, v7
	v_cos_f32_e32 v10, v7
	v_mul_f32_e32 v7, 0x40c90fdb, v14
	v_mul_f32_e32 v7, 0.15915494, v7
	v_cos_f32_e32 v11, v7
	v_cmp_class_f32_e32 vcc, v6, v8
	v_cndmask_b32_e32 v6, v5, v6, vcc
	v_mul_f32_e32 v10, v10, v4
	v_mul_f32_e32 v9, v9, v4
	v_lshlrev_b64 v[4:5], 2, v[2:3]
	s_and_b32 s8, s18, 3
	v_mul_f32_e32 v8, v11, v6
	s_cmp_lg_u64 s[8:9], 0
	v_mul_lo_u32 v11, v0, s19
	v_mul_lo_u32 v12, v1, s18
	v_mad_u64_u32 v[0:1], s[8:9], v0, s18, v[4:5]
	s_cselect_b64 s[0:1], -1, 0
	s_ashr_i32 s8, s19, 31
	s_lshr_b32 s8, s8, 30
	s_add_u32 s8, s18, s8
	s_addc_u32 s9, s19, 0
	s_ashr_i64 s[8:9], s[8:9], 2
	v_cmp_le_i64_e32 vcc, s[8:9], v[2:3]
	s_mov_b64 s[2:3], 0
	v_add3_u32 v1, v12, v1, v11
	s_or_b64 s[0:1], s[0:1], vcc
	s_and_saveexec_b64 s[8:9], s[0:1]
	s_xor_b64 s[0:1], exec, s[8:9]
	s_cbranch_execnz .LBB11_24
; %bb.20:
	s_andn2_saveexec_b64 s[0:1], s[0:1]
	s_cbranch_execnz .LBB11_31
.LBB11_21:
	s_or_b64 exec, exec, s[0:1]
	s_and_b64 exec, exec, s[2:3]
	s_cbranch_execz .LBB11_23
.LBB11_22:
	v_sin_f32_e32 v2, v7
	v_lshlrev_b64 v[0:1], 2, v[0:1]
	s_waitcnt lgkmcnt(0)
	v_mov_b32_e32 v3, s5
	v_add_co_u32_e32 v0, vcc, s4, v0
	v_mul_f32_e32 v2, v2, v6
	v_addc_co_u32_e32 v1, vcc, v3, v1, vcc
	v_mov_b32_e32 v3, s6
	v_fma_f32 v2, s7, v2, v3
	global_store_dword v[0:1], v2, off offset:12
.LBB11_23:
	s_endpgm
.LBB11_24:
	v_cmp_gt_i64_e32 vcc, s[18:19], v[4:5]
	s_mov_b64 s[8:9], 0
	s_and_saveexec_b64 s[2:3], vcc
	s_cbranch_execz .LBB11_30
; %bb.25:
	v_lshlrev_b64 v[2:3], 2, v[0:1]
	s_waitcnt lgkmcnt(0)
	v_mov_b32_e32 v11, s5
	v_add_co_u32_e32 v2, vcc, s4, v2
	v_addc_co_u32_e32 v3, vcc, v11, v3, vcc
	v_mov_b32_e32 v11, s6
	v_fma_f32 v10, s7, v10, v11
	global_store_dword v[2:3], v10, off
	v_or_b32_e32 v10, 1, v4
	v_mov_b32_e32 v11, v5
	v_cmp_gt_u64_e32 vcc, s[18:19], v[10:11]
	s_mov_b64 s[10:11], 0
	s_and_saveexec_b64 s[8:9], vcc
	s_cbranch_execz .LBB11_29
; %bb.26:
	v_mov_b32_e32 v10, s6
	v_fma_f32 v9, s7, v9, v10
	global_store_dword v[2:3], v9, off offset:4
	v_or_b32_e32 v9, 2, v4
	v_mov_b32_e32 v10, v5
	v_cmp_gt_u64_e32 vcc, s[18:19], v[9:10]
	s_mov_b64 s[12:13], 0
	s_and_saveexec_b64 s[10:11], vcc
	s_xor_b64 s[10:11], exec, s[10:11]
	s_cbranch_execz .LBB11_28
; %bb.27:
	v_or_b32_e32 v4, 3, v4
	v_cmp_gt_u64_e32 vcc, s[18:19], v[4:5]
	v_mov_b32_e32 v9, s6
	v_fma_f32 v8, s7, v8, v9
	s_and_b64 s[12:13], vcc, exec
	global_store_dword v[2:3], v8, off offset:8
.LBB11_28:
	s_or_b64 exec, exec, s[10:11]
	s_and_b64 s[10:11], s[12:13], exec
.LBB11_29:
	s_or_b64 exec, exec, s[8:9]
	s_and_b64 s[8:9], s[10:11], exec
.LBB11_30:
	s_or_b64 exec, exec, s[2:3]
	s_and_b64 s[2:3], s[8:9], exec
                                        ; implicit-def: $vgpr10
                                        ; implicit-def: $vgpr9
                                        ; implicit-def: $vgpr8
	s_andn2_saveexec_b64 s[0:1], s[0:1]
	s_cbranch_execz .LBB11_21
.LBB11_31:
	v_mov_b32_e32 v4, s6
	v_fma_f32 v2, s7, v10, v4
	v_fma_f32 v3, s7, v9, v4
	v_fma_f32 v4, s7, v8, v4
	v_lshlrev_b64 v[8:9], 2, v[0:1]
	s_waitcnt lgkmcnt(0)
	v_mov_b32_e32 v5, s5
	v_add_co_u32_e32 v8, vcc, s4, v8
	v_addc_co_u32_e32 v9, vcc, v5, v9, vcc
	s_or_b64 s[2:3], s[2:3], exec
	global_store_dwordx3 v[8:9], v[2:4], off
	s_or_b64 exec, exec, s[0:1]
	s_and_b64 exec, exec, s[2:3]
	s_cbranch_execnz .LBB11_22
	s_branch .LBB11_23
	.section	.rodata,"a",@progbits
	.p2align	6, 0x0
	.amdhsa_kernel _ZN2at6native12_GLOBAL__N_123philox_multi_key_kernelIfZZZZNS0_20_philox_normal_cuda_ERNS_6TensorERKS3_ddENKUlvE_clEvENKUlvE0_clEvENKUlvE_clEvEUlmmE0_ZZZNS0_20_philox_normal_cuda_ES4_S6_ddENKS7_clEvENKS8_clEvEUlfE_EEvPT_PKmllT0_T1_16OffsetCalculatorILi1EjLb0EE
		.amdhsa_group_segment_fixed_size 0
		.amdhsa_private_segment_fixed_size 0
		.amdhsa_kernarg_size 560
		.amdhsa_user_sgpr_count 6
		.amdhsa_user_sgpr_private_segment_buffer 1
		.amdhsa_user_sgpr_dispatch_ptr 0
		.amdhsa_user_sgpr_queue_ptr 0
		.amdhsa_user_sgpr_kernarg_segment_ptr 1
		.amdhsa_user_sgpr_dispatch_id 0
		.amdhsa_user_sgpr_flat_scratch_init 0
		.amdhsa_user_sgpr_private_segment_size 0
		.amdhsa_uses_dynamic_stack 0
		.amdhsa_system_sgpr_private_segment_wavefront_offset 0
		.amdhsa_system_sgpr_workgroup_id_x 1
		.amdhsa_system_sgpr_workgroup_id_y 0
		.amdhsa_system_sgpr_workgroup_id_z 0
		.amdhsa_system_sgpr_workgroup_info 0
		.amdhsa_system_vgpr_workitem_id 0
		.amdhsa_next_free_vgpr 25
		.amdhsa_next_free_sgpr 37
		.amdhsa_reserve_vcc 1
		.amdhsa_reserve_flat_scratch 0
		.amdhsa_float_round_mode_32 0
		.amdhsa_float_round_mode_16_64 0
		.amdhsa_float_denorm_mode_32 3
		.amdhsa_float_denorm_mode_16_64 3
		.amdhsa_dx10_clamp 1
		.amdhsa_ieee_mode 1
		.amdhsa_fp16_overflow 0
		.amdhsa_exception_fp_ieee_invalid_op 0
		.amdhsa_exception_fp_denorm_src 0
		.amdhsa_exception_fp_ieee_div_zero 0
		.amdhsa_exception_fp_ieee_overflow 0
		.amdhsa_exception_fp_ieee_underflow 0
		.amdhsa_exception_fp_ieee_inexact 0
		.amdhsa_exception_int_div_zero 0
	.end_amdhsa_kernel
	.section	.text._ZN2at6native12_GLOBAL__N_123philox_multi_key_kernelIfZZZZNS0_20_philox_normal_cuda_ERNS_6TensorERKS3_ddENKUlvE_clEvENKUlvE0_clEvENKUlvE_clEvEUlmmE0_ZZZNS0_20_philox_normal_cuda_ES4_S6_ddENKS7_clEvENKS8_clEvEUlfE_EEvPT_PKmllT0_T1_16OffsetCalculatorILi1EjLb0EE,"axG",@progbits,_ZN2at6native12_GLOBAL__N_123philox_multi_key_kernelIfZZZZNS0_20_philox_normal_cuda_ERNS_6TensorERKS3_ddENKUlvE_clEvENKUlvE0_clEvENKUlvE_clEvEUlmmE0_ZZZNS0_20_philox_normal_cuda_ES4_S6_ddENKS7_clEvENKS8_clEvEUlfE_EEvPT_PKmllT0_T1_16OffsetCalculatorILi1EjLb0EE,comdat
.Lfunc_end11:
	.size	_ZN2at6native12_GLOBAL__N_123philox_multi_key_kernelIfZZZZNS0_20_philox_normal_cuda_ERNS_6TensorERKS3_ddENKUlvE_clEvENKUlvE0_clEvENKUlvE_clEvEUlmmE0_ZZZNS0_20_philox_normal_cuda_ES4_S6_ddENKS7_clEvENKS8_clEvEUlfE_EEvPT_PKmllT0_T1_16OffsetCalculatorILi1EjLb0EE, .Lfunc_end11-_ZN2at6native12_GLOBAL__N_123philox_multi_key_kernelIfZZZZNS0_20_philox_normal_cuda_ERNS_6TensorERKS3_ddENKUlvE_clEvENKUlvE0_clEvENKUlvE_clEvEUlmmE0_ZZZNS0_20_philox_normal_cuda_ES4_S6_ddENKS7_clEvENKS8_clEvEUlfE_EEvPT_PKmllT0_T1_16OffsetCalculatorILi1EjLb0EE
                                        ; -- End function
	.set _ZN2at6native12_GLOBAL__N_123philox_multi_key_kernelIfZZZZNS0_20_philox_normal_cuda_ERNS_6TensorERKS3_ddENKUlvE_clEvENKUlvE0_clEvENKUlvE_clEvEUlmmE0_ZZZNS0_20_philox_normal_cuda_ES4_S6_ddENKS7_clEvENKS8_clEvEUlfE_EEvPT_PKmllT0_T1_16OffsetCalculatorILi1EjLb0EE.num_vgpr, 25
	.set _ZN2at6native12_GLOBAL__N_123philox_multi_key_kernelIfZZZZNS0_20_philox_normal_cuda_ERNS_6TensorERKS3_ddENKUlvE_clEvENKUlvE0_clEvENKUlvE_clEvEUlmmE0_ZZZNS0_20_philox_normal_cuda_ES4_S6_ddENKS7_clEvENKS8_clEvEUlfE_EEvPT_PKmllT0_T1_16OffsetCalculatorILi1EjLb0EE.num_agpr, 0
	.set _ZN2at6native12_GLOBAL__N_123philox_multi_key_kernelIfZZZZNS0_20_philox_normal_cuda_ERNS_6TensorERKS3_ddENKUlvE_clEvENKUlvE0_clEvENKUlvE_clEvEUlmmE0_ZZZNS0_20_philox_normal_cuda_ES4_S6_ddENKS7_clEvENKS8_clEvEUlfE_EEvPT_PKmllT0_T1_16OffsetCalculatorILi1EjLb0EE.numbered_sgpr, 37
	.set _ZN2at6native12_GLOBAL__N_123philox_multi_key_kernelIfZZZZNS0_20_philox_normal_cuda_ERNS_6TensorERKS3_ddENKUlvE_clEvENKUlvE0_clEvENKUlvE_clEvEUlmmE0_ZZZNS0_20_philox_normal_cuda_ES4_S6_ddENKS7_clEvENKS8_clEvEUlfE_EEvPT_PKmllT0_T1_16OffsetCalculatorILi1EjLb0EE.num_named_barrier, 0
	.set _ZN2at6native12_GLOBAL__N_123philox_multi_key_kernelIfZZZZNS0_20_philox_normal_cuda_ERNS_6TensorERKS3_ddENKUlvE_clEvENKUlvE0_clEvENKUlvE_clEvEUlmmE0_ZZZNS0_20_philox_normal_cuda_ES4_S6_ddENKS7_clEvENKS8_clEvEUlfE_EEvPT_PKmllT0_T1_16OffsetCalculatorILi1EjLb0EE.private_seg_size, 0
	.set _ZN2at6native12_GLOBAL__N_123philox_multi_key_kernelIfZZZZNS0_20_philox_normal_cuda_ERNS_6TensorERKS3_ddENKUlvE_clEvENKUlvE0_clEvENKUlvE_clEvEUlmmE0_ZZZNS0_20_philox_normal_cuda_ES4_S6_ddENKS7_clEvENKS8_clEvEUlfE_EEvPT_PKmllT0_T1_16OffsetCalculatorILi1EjLb0EE.uses_vcc, 1
	.set _ZN2at6native12_GLOBAL__N_123philox_multi_key_kernelIfZZZZNS0_20_philox_normal_cuda_ERNS_6TensorERKS3_ddENKUlvE_clEvENKUlvE0_clEvENKUlvE_clEvEUlmmE0_ZZZNS0_20_philox_normal_cuda_ES4_S6_ddENKS7_clEvENKS8_clEvEUlfE_EEvPT_PKmllT0_T1_16OffsetCalculatorILi1EjLb0EE.uses_flat_scratch, 0
	.set _ZN2at6native12_GLOBAL__N_123philox_multi_key_kernelIfZZZZNS0_20_philox_normal_cuda_ERNS_6TensorERKS3_ddENKUlvE_clEvENKUlvE0_clEvENKUlvE_clEvEUlmmE0_ZZZNS0_20_philox_normal_cuda_ES4_S6_ddENKS7_clEvENKS8_clEvEUlfE_EEvPT_PKmllT0_T1_16OffsetCalculatorILi1EjLb0EE.has_dyn_sized_stack, 0
	.set _ZN2at6native12_GLOBAL__N_123philox_multi_key_kernelIfZZZZNS0_20_philox_normal_cuda_ERNS_6TensorERKS3_ddENKUlvE_clEvENKUlvE0_clEvENKUlvE_clEvEUlmmE0_ZZZNS0_20_philox_normal_cuda_ES4_S6_ddENKS7_clEvENKS8_clEvEUlfE_EEvPT_PKmllT0_T1_16OffsetCalculatorILi1EjLb0EE.has_recursion, 0
	.set _ZN2at6native12_GLOBAL__N_123philox_multi_key_kernelIfZZZZNS0_20_philox_normal_cuda_ERNS_6TensorERKS3_ddENKUlvE_clEvENKUlvE0_clEvENKUlvE_clEvEUlmmE0_ZZZNS0_20_philox_normal_cuda_ES4_S6_ddENKS7_clEvENKS8_clEvEUlfE_EEvPT_PKmllT0_T1_16OffsetCalculatorILi1EjLb0EE.has_indirect_call, 0
	.section	.AMDGPU.csdata,"",@progbits
; Kernel info:
; codeLenInByte = 3236
; TotalNumSgprs: 41
; NumVgprs: 25
; ScratchSize: 0
; MemoryBound: 0
; FloatMode: 240
; IeeeMode: 1
; LDSByteSize: 0 bytes/workgroup (compile time only)
; SGPRBlocks: 5
; VGPRBlocks: 6
; NumSGPRsForWavesPerEU: 41
; NumVGPRsForWavesPerEU: 25
; Occupancy: 9
; WaveLimiterHint : 1
; COMPUTE_PGM_RSRC2:SCRATCH_EN: 0
; COMPUTE_PGM_RSRC2:USER_SGPR: 6
; COMPUTE_PGM_RSRC2:TRAP_HANDLER: 0
; COMPUTE_PGM_RSRC2:TGID_X_EN: 1
; COMPUTE_PGM_RSRC2:TGID_Y_EN: 0
; COMPUTE_PGM_RSRC2:TGID_Z_EN: 0
; COMPUTE_PGM_RSRC2:TIDIG_COMP_CNT: 0
	.section	.text._ZN2at6native12_GLOBAL__N_124philox_single_key_kernelIN3c104HalfEZZZZNS0_20_philox_normal_cuda_ERNS_6TensorERKS5_ddENKUlvE_clEvENKUlvE1_clEvENKUlvE_clEvEUlmmE0_ZZZNS0_20_philox_normal_cuda_ES6_S8_ddENKS9_clEvENKSA_clEvEUlfE_EEvPT_PKmlT0_T1_,"axG",@progbits,_ZN2at6native12_GLOBAL__N_124philox_single_key_kernelIN3c104HalfEZZZZNS0_20_philox_normal_cuda_ERNS_6TensorERKS5_ddENKUlvE_clEvENKUlvE1_clEvENKUlvE_clEvEUlmmE0_ZZZNS0_20_philox_normal_cuda_ES6_S8_ddENKS9_clEvENKSA_clEvEUlfE_EEvPT_PKmlT0_T1_,comdat
	.globl	_ZN2at6native12_GLOBAL__N_124philox_single_key_kernelIN3c104HalfEZZZZNS0_20_philox_normal_cuda_ERNS_6TensorERKS5_ddENKUlvE_clEvENKUlvE1_clEvENKUlvE_clEvEUlmmE0_ZZZNS0_20_philox_normal_cuda_ES6_S8_ddENKS9_clEvENKSA_clEvEUlfE_EEvPT_PKmlT0_T1_ ; -- Begin function _ZN2at6native12_GLOBAL__N_124philox_single_key_kernelIN3c104HalfEZZZZNS0_20_philox_normal_cuda_ERNS_6TensorERKS5_ddENKUlvE_clEvENKUlvE1_clEvENKUlvE_clEvEUlmmE0_ZZZNS0_20_philox_normal_cuda_ES6_S8_ddENKS9_clEvENKSA_clEvEUlfE_EEvPT_PKmlT0_T1_
	.p2align	8
	.type	_ZN2at6native12_GLOBAL__N_124philox_single_key_kernelIN3c104HalfEZZZZNS0_20_philox_normal_cuda_ERNS_6TensorERKS5_ddENKUlvE_clEvENKUlvE1_clEvENKUlvE_clEvEUlmmE0_ZZZNS0_20_philox_normal_cuda_ES6_S8_ddENKS9_clEvENKSA_clEvEUlfE_EEvPT_PKmlT0_T1_,@function
_ZN2at6native12_GLOBAL__N_124philox_single_key_kernelIN3c104HalfEZZZZNS0_20_philox_normal_cuda_ERNS_6TensorERKS5_ddENKUlvE_clEvENKUlvE1_clEvENKUlvE_clEvEUlmmE0_ZZZNS0_20_philox_normal_cuda_ES6_S8_ddENKS9_clEvENKSA_clEvEUlfE_EEvPT_PKmlT0_T1_: ; @_ZN2at6native12_GLOBAL__N_124philox_single_key_kernelIN3c104HalfEZZZZNS0_20_philox_normal_cuda_ERNS_6TensorERKS5_ddENKUlvE_clEvENKUlvE1_clEvENKUlvE_clEvEUlmmE0_ZZZNS0_20_philox_normal_cuda_ES6_S8_ddENKS9_clEvENKSA_clEvEUlfE_EEvPT_PKmlT0_T1_
; %bb.0:
	s_load_dwordx2 s[18:19], s[6:7], 0x10
	s_load_dwordx4 s[12:15], s[6:7], 0x0
	s_load_dwordx2 s[16:17], s[6:7], 0x1c
	s_load_dword s2, s[6:7], 0x34
	v_mov_b32_e32 v3, v1
	s_waitcnt lgkmcnt(0)
	s_ashr_i32 s0, s19, 31
	s_lshr_b32 s0, s0, 30
	s_add_u32 s0, s18, s0
	s_addc_u32 s1, s19, 0
	s_and_b32 s2, s2, 0xffff
	v_mov_b32_e32 v1, 0
	v_mov_b32_e32 v4, s8
	v_mad_u64_u32 v[4:5], s[2:3], s2, v4, v[0:1]
	s_load_dwordx4 s[8:11], s[14:15], 0x0
	s_ashr_i64 s[6:7], s[0:1], 2
	v_cmp_gt_i64_e32 vcc, s[6:7], v[4:5]
	s_and_saveexec_b64 s[14:15], vcc
	s_cbranch_execz .LBB12_2
; %bb.1:
	s_waitcnt lgkmcnt(0)
	v_add_co_u32_e32 v6, vcc, s10, v4
	s_mov_b32 s0, 0xd2511f53
	v_mul_hi_u32 v7, v6, s0
	v_mov_b32_e32 v1, s11
	v_addc_co_u32_e32 v1, vcc, v5, v1, vcc
	v_xor_b32_e32 v7, s9, v7
	s_mov_b32 s20, 0xcd9e8d57
	v_mul_lo_u32 v6, v6, s0
	v_xor_b32_e32 v1, s8, v1
	v_mul_hi_u32 v8, v7, s20
	v_mul_lo_u32 v9, v1, s0
	v_mul_hi_u32 v1, v1, s0
	s_add_i32 s2, s8, 0x9e3779b9
	s_add_i32 s3, s9, 0xbb67ae85
	v_xor_b32_e32 v8, s2, v8
	v_xor_b32_e32 v6, s3, v6
	v_mul_lo_u32 v7, v7, s20
	v_xor_b32_e32 v1, v6, v1
	v_mul_lo_u32 v6, v8, s0
	v_mul_hi_u32 v8, v8, s0
	v_mul_hi_u32 v10, v1, s20
	s_add_i32 s3, s9, 0x76cf5d0a
	s_add_i32 s2, s8, 0x3c6ef372
	v_xor_b32_e32 v9, s3, v9
	v_mul_lo_u32 v1, v1, s20
	v_xor_b32_e32 v7, s2, v7
	v_xor_b32_e32 v8, v9, v8
	v_xor_b32_e32 v7, v7, v10
	v_mul_hi_u32 v10, v8, s20
	v_mul_lo_u32 v9, v7, s0
	v_mul_hi_u32 v7, v7, s0
	s_add_i32 s2, s8, 0xdaa66d2b
	s_add_i32 s3, s9, 0x32370b8f
	v_xor_b32_e32 v1, s2, v1
	v_xor_b32_e32 v1, v1, v10
	v_xor_b32_e32 v6, s3, v6
	v_mul_lo_u32 v8, v8, s20
	v_xor_b32_e32 v6, v6, v7
	v_mul_lo_u32 v7, v1, s0
	v_mul_hi_u32 v1, v1, s0
	v_mul_hi_u32 v10, v6, s20
	s_add_i32 s3, s9, 0xed9eba14
	s_add_i32 s2, s8, 0x78dde6e4
	v_xor_b32_e32 v9, s3, v9
	v_mul_lo_u32 v6, v6, s20
	v_xor_b32_e32 v8, s2, v8
	v_xor_b32_e32 v1, v9, v1
	v_xor_b32_e32 v8, v8, v10
	v_mul_hi_u32 v10, v1, s20
	v_mul_lo_u32 v9, v8, s0
	v_mul_hi_u32 v8, v8, s0
	s_add_i32 s2, s8, 0x1715609d
	s_add_i32 s3, s9, 0xa9066899
	v_xor_b32_e32 v6, s2, v6
	;; [unrolled: 20-line block ×3, first 2 shown]
	v_xor_b32_e32 v7, v7, v10
	v_xor_b32_e32 v8, s3, v8
	v_mul_lo_u32 v6, v6, s20
	v_xor_b32_e32 v1, v8, v1
	v_mul_lo_u32 v8, v7, s0
	v_mul_hi_u32 v7, v7, s0
	v_mul_hi_u32 v10, v1, s20
	s_add_i32 s3, s9, 0xdb3d7428
	s_add_i32 s2, s8, 0xf1bbcdc8
	v_xor_b32_e32 v9, s3, v9
	v_mul_lo_u32 v1, v1, s20
	v_xor_b32_e32 v6, s2, v6
	v_xor_b32_e32 v7, v9, v7
	;; [unrolled: 1-line block ×3, first 2 shown]
	v_mul_hi_u32 v10, v7, s20
	s_add_i32 s1, s8, 0x8ff34781
	v_mul_lo_u32 v7, v7, s20
	v_xor_b32_e32 v1, s1, v1
	v_xor_b32_e32 v1, v1, v10
	v_cvt_f32_u32_e32 v1, v1
	v_cvt_f32_u32_e32 v7, v7
	s_add_i32 s2, s9, 0x96a522ad
	v_mov_b32_e32 v10, 0x2f000000
	v_xor_b32_e32 v8, s2, v8
	v_fmac_f32_e32 v10, 0x2f800000, v1
	s_mov_b32 s2, 0x800000
	v_mov_b32_e32 v1, 0x2f000000
	v_cmp_gt_f32_e32 vcc, s2, v10
	v_fmac_f32_e32 v1, 0x2f800000, v7
	v_cndmask_b32_e64 v7, 0, 32, vcc
	v_ldexp_f32 v7, v10, v7
	v_log_f32_e32 v7, v7
	s_mov_b32 s20, 0x3f317217
	s_mov_b32 s21, 0x7f800000
	v_mul_lo_u32 v9, v6, s0
	v_mul_f32_e32 v10, 0x3f317217, v7
	v_fma_f32 v10, v7, s20, -v10
	v_fmac_f32_e32 v10, 0x3377d1cf, v7
	v_mul_hi_u32 v6, v6, s0
	v_fmac_f32_e32 v10, 0x3f317217, v7
	v_cmp_lt_f32_e64 s[0:1], |v7|, s21
	v_cndmask_b32_e64 v7, v7, v10, s[0:1]
	v_mov_b32_e32 v10, 0x41b17218
	v_cndmask_b32_e32 v11, 0, v10, vcc
	v_sub_f32_e32 v7, v7, v11
	v_mul_f32_e32 v7, -2.0, v7
	s_mov_b32 s22, 0xf800000
	v_mul_f32_e32 v11, 0x4f800000, v7
	v_cmp_gt_f32_e32 vcc, s22, v7
	v_xor_b32_e32 v6, v8, v6
	v_cndmask_b32_e32 v7, v7, v11, vcc
	v_cvt_f32_u32_e32 v6, v6
	v_sqrt_f32_e32 v11, v7
	v_cvt_f32_u32_e32 v9, v9
	v_mov_b32_e32 v12, 0x2f000000
	v_mov_b32_e32 v8, 0x2f000000
	v_fmac_f32_e32 v12, 0x2f800000, v6
	v_add_u32_e32 v6, -1, v11
	v_fmac_f32_e32 v8, 0x2f800000, v9
	v_fma_f32 v9, -v6, v11, v7
	v_cmp_ge_f32_e64 s[0:1], 0, v9
	v_cndmask_b32_e64 v6, v11, v6, s[0:1]
	v_cmp_gt_f32_e64 s[0:1], s2, v12
	v_cndmask_b32_e64 v13, 0, 32, s[0:1]
	v_add_u32_e32 v9, 1, v11
	v_ldexp_f32 v12, v12, v13
	v_fma_f32 v11, -v9, v11, v7
	v_log_f32_e32 v12, v12
	v_cmp_lt_f32_e64 s[2:3], 0, v11
	v_cndmask_b32_e64 v6, v6, v9, s[2:3]
	v_mul_f32_e32 v9, 0x37800000, v6
	v_cndmask_b32_e32 v6, v6, v9, vcc
	v_mul_f32_e32 v9, 0x3f317217, v12
	v_fma_f32 v9, v12, s20, -v9
	v_fmac_f32_e32 v9, 0x3377d1cf, v12
	v_fmac_f32_e32 v9, 0x3f317217, v12
	v_cmp_lt_f32_e64 vcc, |v12|, s21
	v_cndmask_b32_e32 v9, v12, v9, vcc
	v_cndmask_b32_e64 v10, 0, v10, s[0:1]
	v_sub_f32_e32 v9, v9, v10
	v_mul_f32_e32 v9, -2.0, v9
	v_mul_f32_e32 v10, 0x4f800000, v9
	v_cmp_gt_f32_e32 vcc, s22, v9
	v_cndmask_b32_e32 v9, v9, v10, vcc
	v_sqrt_f32_e32 v10, v9
	v_mov_b32_e32 v11, 0x260
	v_cmp_class_f32_e64 s[0:1], v7, v11
	v_cndmask_b32_e64 v6, v6, v7, s[0:1]
	v_add_u32_e32 v7, -1, v10
	v_fma_f32 v12, -v7, v10, v9
	v_cmp_ge_f32_e64 s[0:1], 0, v12
	v_add_u32_e32 v12, 1, v10
	v_cndmask_b32_e64 v7, v10, v7, s[0:1]
	v_fma_f32 v10, -v12, v10, v9
	v_cmp_lt_f32_e64 s[0:1], 0, v10
	v_cndmask_b32_e64 v7, v7, v12, s[0:1]
	v_mul_f32_e32 v10, 0x37800000, v7
	v_mul_f32_e32 v1, 0x40c90fdb, v1
	;; [unrolled: 1-line block ×3, first 2 shown]
	v_cndmask_b32_e32 v7, v7, v10, vcc
	v_cmp_class_f32_e32 vcc, v9, v11
	v_mul_f32_e32 v1, 0.15915494, v1
	v_mul_f32_e32 v8, 0.15915494, v8
	v_cndmask_b32_e32 v7, v7, v9, vcc
	v_sin_f32_e32 v9, v1
	v_cos_f32_e32 v10, v8
	v_sin_f32_e32 v8, v8
	v_cos_f32_e32 v1, v1
	v_mul_f32_e32 v11, v9, v6
	v_mul_f32_e32 v9, v10, v7
	v_mov_b32_e32 v12, s16
	v_mul_f32_e32 v10, v8, v7
	v_fma_mixlo_f16 v7, s17, v9, v12
	v_lshlrev_b64 v[8:9], 3, v[4:5]
	v_mul_f32_e32 v1, v1, v6
	v_fma_mixlo_f16 v6, s17, v1, v12
	v_mov_b32_e32 v1, s13
	v_add_co_u32_e32 v8, vcc, s12, v8
	v_addc_co_u32_e32 v9, vcc, v1, v9, vcc
	v_fma_mixhi_f16 v7, s17, v10, v12
	v_fma_mixhi_f16 v6, s17, v11, v12
	global_store_dwordx2 v[8:9], v[6:7], off
.LBB12_2:
	s_or_b64 exec, exec, s[14:15]
	v_cmp_eq_u64_e32 vcc, s[6:7], v[4:5]
	s_and_saveexec_b64 s[0:1], vcc
	s_cbranch_execz .LBB12_6
; %bb.3:
	s_load_dwordx2 s[0:1], s[4:5], 0x4
	s_lshl_b64 s[2:3], s[6:7], 2
	v_mov_b32_e32 v4, 0x2f000000
	s_waitcnt lgkmcnt(0)
	s_lshr_b32 s0, s0, 16
	s_mul_i32 s0, s0, s1
	v_mul_lo_u32 v0, s0, v0
	s_add_u32 s4, s10, s6
	s_addc_u32 s0, s11, s7
	s_mul_i32 s7, s4, 0xd2511f53
	s_mul_hi_u32 s5, s4, 0xd2511f53
	s_xor_b32 s4, s0, s8
	v_mad_u32_u24 v0, v3, s1, v0
	s_xor_b64 s[0:1], s[4:5], s[8:9]
	s_add_i32 s0, s8, 0x9e3779b9
	s_add_i32 s5, s9, 0xbb67ae85
	s_mul_i32 s11, s1, 0xcd9e8d57
	s_mul_hi_u32 s1, s1, 0xcd9e8d57
	s_mul_i32 s10, s4, 0xd2511f53
	s_mul_hi_u32 s4, s4, 0xd2511f53
	s_xor_b32 s0, s0, s1
	s_xor_b32 s1, s7, s5
	s_xor_b32 s1, s1, s4
	s_add_i32 s4, s8, 0x3c6ef372
	s_add_i32 s5, s9, 0x76cf5d0a
	s_mul_i32 s14, s1, 0xcd9e8d57
	s_mul_hi_u32 s1, s1, 0xcd9e8d57
	s_xor_b32 s4, s11, s4
	s_mul_i32 s7, s0, 0xd2511f53
	s_mul_hi_u32 s0, s0, 0xd2511f53
	s_xor_b32 s1, s4, s1
	s_xor_b32 s4, s10, s5
	s_xor_b32 s0, s4, s0
	s_add_i32 s4, s8, 0xdaa66d2b
	s_add_i32 s5, s9, 0x32370b8f
	s_mul_i32 s11, s0, 0xcd9e8d57
	s_mul_hi_u32 s0, s0, 0xcd9e8d57
	s_xor_b32 s4, s14, s4
	;; [unrolled: 10-line block ×6, first 2 shown]
	s_mul_i32 s10, s1, 0xd2511f53
	s_mul_hi_u32 s1, s1, 0xd2511f53
	s_xor_b32 s0, s4, s0
	s_xor_b32 s4, s7, s5
	;; [unrolled: 1-line block ×3, first 2 shown]
	s_add_i32 s4, s8, 0xf1bbcdc8
	s_add_i32 s6, s8, 0x8ff34781
	;; [unrolled: 1-line block ×3, first 2 shown]
	s_mul_i32 s8, s1, 0xcd9e8d57
	s_mul_hi_u32 s1, s1, 0xcd9e8d57
	s_xor_b32 s4, s11, s4
	s_mul_i32 s7, s0, 0xd2511f53
	s_mul_hi_u32 s0, s0, 0xd2511f53
	s_xor_b32 s1, s4, s1
	s_xor_b32 s4, s10, s5
	s_xor_b32 s0, s4, s0
	s_add_i32 s4, s9, 0x96a522ad
	s_mul_i32 s9, s0, 0xcd9e8d57
	s_mul_hi_u32 s0, s0, 0xcd9e8d57
	s_xor_b32 s6, s8, s6
	s_xor_b32 s0, s6, s0
	v_cvt_f32_u32_e32 v1, s0
	s_mul_i32 s5, s1, 0xd2511f53
	s_mul_hi_u32 s1, s1, 0xd2511f53
	s_xor_b32 s4, s7, s4
	v_fmac_f32_e32 v4, 0x2f800000, v1
	s_mov_b32 s6, 0x800000
	s_xor_b32 s4, s4, s1
	v_cmp_gt_f32_e32 vcc, s6, v4
	s_and_b64 s[0:1], vcc, exec
	s_cselect_b32 s0, 32, 0
	v_ldexp_f32 v4, v4, s0
	v_log_f32_e32 v4, v4
	v_cvt_f32_u32_e32 v3, s9
	v_cvt_f32_u32_e32 v6, s4
	s_mov_b32 s4, 0x3f317217
	v_mul_f32_e32 v8, 0x3f317217, v4
	v_mov_b32_e32 v1, 0x2f000000
	v_fma_f32 v8, v4, s4, -v8
	v_fmac_f32_e32 v1, 0x2f800000, v3
	v_mov_b32_e32 v3, 0x41b17218
	v_cvt_f32_u32_e32 v7, s5
	v_fmac_f32_e32 v8, 0x3377d1cf, v4
	s_mov_b32 s5, 0x7f800000
	v_cndmask_b32_e32 v5, 0, v3, vcc
	v_fmac_f32_e32 v8, 0x3f317217, v4
	v_cmp_lt_f32_e64 vcc, |v4|, s5
	v_cndmask_b32_e32 v4, v4, v8, vcc
	v_sub_f32_e32 v4, v4, v5
	v_mul_f32_e32 v4, -2.0, v4
	s_mov_b32 s7, 0xf800000
	v_mul_f32_e32 v5, 0x4f800000, v4
	v_cmp_gt_f32_e32 vcc, s7, v4
	v_cndmask_b32_e32 v4, v4, v5, vcc
	v_sqrt_f32_e32 v5, v4
	v_mov_b32_e32 v8, 0x2f000000
	v_add_lshl_u32 v0, v0, v2, 4
	v_mov_b32_e32 v2, 0x2f000000
	v_fmac_f32_e32 v8, 0x2f800000, v6
	v_add_u32_e32 v6, -1, v5
	v_fmac_f32_e32 v2, 0x2f800000, v7
	v_fma_f32 v7, -v6, v5, v4
	v_cmp_ge_f32_e64 s[0:1], 0, v7
	v_cndmask_b32_e64 v6, v5, v6, s[0:1]
	v_cmp_gt_f32_e64 s[0:1], s6, v8
	v_cndmask_b32_e64 v3, 0, v3, s[0:1]
	s_and_b64 s[0:1], s[0:1], exec
	s_cselect_b32 s0, 32, 0
	v_add_u32_e32 v7, 1, v5
	v_ldexp_f32 v8, v8, s0
	v_fma_f32 v5, -v7, v5, v4
	v_log_f32_e32 v8, v8
	v_cmp_lt_f32_e64 s[0:1], 0, v5
	v_cndmask_b32_e64 v5, v6, v7, s[0:1]
	v_mul_f32_e32 v6, 0x37800000, v5
	v_cndmask_b32_e32 v5, v5, v6, vcc
	v_mul_f32_e32 v6, 0x3f317217, v8
	v_fma_f32 v6, v8, s4, -v6
	v_fmac_f32_e32 v6, 0x3377d1cf, v8
	v_fmac_f32_e32 v6, 0x3f317217, v8
	v_cmp_lt_f32_e64 vcc, |v8|, s5
	v_cndmask_b32_e32 v6, v8, v6, vcc
	v_sub_f32_e32 v3, v6, v3
	v_mul_f32_e32 v3, -2.0, v3
	v_mul_f32_e32 v6, 0x4f800000, v3
	v_cmp_gt_f32_e32 vcc, s7, v3
	v_cndmask_b32_e32 v3, v3, v6, vcc
	v_sqrt_f32_e32 v6, v3
	v_mov_b32_e32 v7, 0x260
	v_cmp_class_f32_e64 s[0:1], v4, v7
	v_cndmask_b32_e64 v4, v5, v4, s[0:1]
	v_add_u32_e32 v5, -1, v6
	v_fma_f32 v8, -v5, v6, v3
	v_cmp_ge_f32_e64 s[0:1], 0, v8
	v_add_u32_e32 v8, 1, v6
	v_cndmask_b32_e64 v5, v6, v5, s[0:1]
	v_fma_f32 v6, -v8, v6, v3
	v_cmp_lt_f32_e64 s[0:1], 0, v6
	v_cndmask_b32_e64 v5, v5, v8, s[0:1]
	v_mul_f32_e32 v6, 0x37800000, v5
	v_mul_f32_e32 v1, 0x40c90fdb, v1
	;; [unrolled: 1-line block ×3, first 2 shown]
	v_cndmask_b32_e32 v5, v5, v6, vcc
	v_cmp_class_f32_e32 vcc, v3, v7
	v_mul_f32_e32 v1, 0.15915494, v1
	v_mul_f32_e32 v2, 0.15915494, v2
	v_cndmask_b32_e32 v5, v5, v3, vcc
	v_sin_f32_e32 v3, v1
	v_cos_f32_e32 v1, v1
	v_cos_f32_e32 v6, v2
	v_sin_f32_e32 v7, v2
	s_sub_u32 s0, s18, s2
	s_subb_u32 s1, s19, s3
	v_cmp_lt_i64_e64 s[4:5], s[0:1], 1
	v_mul_f32_e32 v1, v1, v4
	v_mul_f32_e32 v2, v3, v4
	;; [unrolled: 1-line block ×4, first 2 shown]
	s_and_b64 vcc, exec, s[4:5]
	ds_write_b128 v0, v[1:4]
	s_cbranch_vccnz .LBB12_6
; %bb.4:
	s_lshl_b64 s[2:3], s[2:3], 1
	s_add_u32 s2, s12, s2
	s_addc_u32 s3, s13, s3
	s_mov_b64 s[4:5], 0
	v_mov_b32_e32 v1, s16
	v_mov_b32_e32 v2, 0
.LBB12_5:                               ; =>This Inner Loop Header: Depth=1
	ds_read_b32 v5, v0
	s_add_u32 s4, s4, 1
	s_addc_u32 s5, s5, 0
	v_mov_b32_e32 v3, s4
	v_mov_b32_e32 v4, s5
	v_cmp_gt_i64_e32 vcc, s[0:1], v[3:4]
	s_waitcnt lgkmcnt(0)
	v_fma_mixlo_f16 v3, s17, v5, v1
	global_store_short v2, v3, s[2:3]
	s_add_u32 s2, s2, 2
	v_add_u32_e32 v0, 4, v0
	s_addc_u32 s3, s3, 0
	s_cbranch_vccnz .LBB12_5
.LBB12_6:
	s_endpgm
	.section	.rodata,"a",@progbits
	.p2align	6, 0x0
	.amdhsa_kernel _ZN2at6native12_GLOBAL__N_124philox_single_key_kernelIN3c104HalfEZZZZNS0_20_philox_normal_cuda_ERNS_6TensorERKS5_ddENKUlvE_clEvENKUlvE1_clEvENKUlvE_clEvEUlmmE0_ZZZNS0_20_philox_normal_cuda_ES6_S8_ddENKS9_clEvENKSA_clEvEUlfE_EEvPT_PKmlT0_T1_
		.amdhsa_group_segment_fixed_size 16384
		.amdhsa_private_segment_fixed_size 0
		.amdhsa_kernarg_size 296
		.amdhsa_user_sgpr_count 8
		.amdhsa_user_sgpr_private_segment_buffer 1
		.amdhsa_user_sgpr_dispatch_ptr 1
		.amdhsa_user_sgpr_queue_ptr 0
		.amdhsa_user_sgpr_kernarg_segment_ptr 1
		.amdhsa_user_sgpr_dispatch_id 0
		.amdhsa_user_sgpr_flat_scratch_init 0
		.amdhsa_user_sgpr_private_segment_size 0
		.amdhsa_uses_dynamic_stack 0
		.amdhsa_system_sgpr_private_segment_wavefront_offset 0
		.amdhsa_system_sgpr_workgroup_id_x 1
		.amdhsa_system_sgpr_workgroup_id_y 0
		.amdhsa_system_sgpr_workgroup_id_z 0
		.amdhsa_system_sgpr_workgroup_info 0
		.amdhsa_system_vgpr_workitem_id 2
		.amdhsa_next_free_vgpr 14
		.amdhsa_next_free_sgpr 23
		.amdhsa_reserve_vcc 1
		.amdhsa_reserve_flat_scratch 0
		.amdhsa_float_round_mode_32 0
		.amdhsa_float_round_mode_16_64 0
		.amdhsa_float_denorm_mode_32 3
		.amdhsa_float_denorm_mode_16_64 3
		.amdhsa_dx10_clamp 1
		.amdhsa_ieee_mode 1
		.amdhsa_fp16_overflow 0
		.amdhsa_exception_fp_ieee_invalid_op 0
		.amdhsa_exception_fp_denorm_src 0
		.amdhsa_exception_fp_ieee_div_zero 0
		.amdhsa_exception_fp_ieee_overflow 0
		.amdhsa_exception_fp_ieee_underflow 0
		.amdhsa_exception_fp_ieee_inexact 0
		.amdhsa_exception_int_div_zero 0
	.end_amdhsa_kernel
	.section	.text._ZN2at6native12_GLOBAL__N_124philox_single_key_kernelIN3c104HalfEZZZZNS0_20_philox_normal_cuda_ERNS_6TensorERKS5_ddENKUlvE_clEvENKUlvE1_clEvENKUlvE_clEvEUlmmE0_ZZZNS0_20_philox_normal_cuda_ES6_S8_ddENKS9_clEvENKSA_clEvEUlfE_EEvPT_PKmlT0_T1_,"axG",@progbits,_ZN2at6native12_GLOBAL__N_124philox_single_key_kernelIN3c104HalfEZZZZNS0_20_philox_normal_cuda_ERNS_6TensorERKS5_ddENKUlvE_clEvENKUlvE1_clEvENKUlvE_clEvEUlmmE0_ZZZNS0_20_philox_normal_cuda_ES6_S8_ddENKS9_clEvENKSA_clEvEUlfE_EEvPT_PKmlT0_T1_,comdat
.Lfunc_end12:
	.size	_ZN2at6native12_GLOBAL__N_124philox_single_key_kernelIN3c104HalfEZZZZNS0_20_philox_normal_cuda_ERNS_6TensorERKS5_ddENKUlvE_clEvENKUlvE1_clEvENKUlvE_clEvEUlmmE0_ZZZNS0_20_philox_normal_cuda_ES6_S8_ddENKS9_clEvENKSA_clEvEUlfE_EEvPT_PKmlT0_T1_, .Lfunc_end12-_ZN2at6native12_GLOBAL__N_124philox_single_key_kernelIN3c104HalfEZZZZNS0_20_philox_normal_cuda_ERNS_6TensorERKS5_ddENKUlvE_clEvENKUlvE1_clEvENKUlvE_clEvEUlmmE0_ZZZNS0_20_philox_normal_cuda_ES6_S8_ddENKS9_clEvENKSA_clEvEUlfE_EEvPT_PKmlT0_T1_
                                        ; -- End function
	.set _ZN2at6native12_GLOBAL__N_124philox_single_key_kernelIN3c104HalfEZZZZNS0_20_philox_normal_cuda_ERNS_6TensorERKS5_ddENKUlvE_clEvENKUlvE1_clEvENKUlvE_clEvEUlmmE0_ZZZNS0_20_philox_normal_cuda_ES6_S8_ddENKS9_clEvENKSA_clEvEUlfE_EEvPT_PKmlT0_T1_.num_vgpr, 14
	.set _ZN2at6native12_GLOBAL__N_124philox_single_key_kernelIN3c104HalfEZZZZNS0_20_philox_normal_cuda_ERNS_6TensorERKS5_ddENKUlvE_clEvENKUlvE1_clEvENKUlvE_clEvEUlmmE0_ZZZNS0_20_philox_normal_cuda_ES6_S8_ddENKS9_clEvENKSA_clEvEUlfE_EEvPT_PKmlT0_T1_.num_agpr, 0
	.set _ZN2at6native12_GLOBAL__N_124philox_single_key_kernelIN3c104HalfEZZZZNS0_20_philox_normal_cuda_ERNS_6TensorERKS5_ddENKUlvE_clEvENKUlvE1_clEvENKUlvE_clEvEUlmmE0_ZZZNS0_20_philox_normal_cuda_ES6_S8_ddENKS9_clEvENKSA_clEvEUlfE_EEvPT_PKmlT0_T1_.numbered_sgpr, 23
	.set _ZN2at6native12_GLOBAL__N_124philox_single_key_kernelIN3c104HalfEZZZZNS0_20_philox_normal_cuda_ERNS_6TensorERKS5_ddENKUlvE_clEvENKUlvE1_clEvENKUlvE_clEvEUlmmE0_ZZZNS0_20_philox_normal_cuda_ES6_S8_ddENKS9_clEvENKSA_clEvEUlfE_EEvPT_PKmlT0_T1_.num_named_barrier, 0
	.set _ZN2at6native12_GLOBAL__N_124philox_single_key_kernelIN3c104HalfEZZZZNS0_20_philox_normal_cuda_ERNS_6TensorERKS5_ddENKUlvE_clEvENKUlvE1_clEvENKUlvE_clEvEUlmmE0_ZZZNS0_20_philox_normal_cuda_ES6_S8_ddENKS9_clEvENKSA_clEvEUlfE_EEvPT_PKmlT0_T1_.private_seg_size, 0
	.set _ZN2at6native12_GLOBAL__N_124philox_single_key_kernelIN3c104HalfEZZZZNS0_20_philox_normal_cuda_ERNS_6TensorERKS5_ddENKUlvE_clEvENKUlvE1_clEvENKUlvE_clEvEUlmmE0_ZZZNS0_20_philox_normal_cuda_ES6_S8_ddENKS9_clEvENKSA_clEvEUlfE_EEvPT_PKmlT0_T1_.uses_vcc, 1
	.set _ZN2at6native12_GLOBAL__N_124philox_single_key_kernelIN3c104HalfEZZZZNS0_20_philox_normal_cuda_ERNS_6TensorERKS5_ddENKUlvE_clEvENKUlvE1_clEvENKUlvE_clEvEUlmmE0_ZZZNS0_20_philox_normal_cuda_ES6_S8_ddENKS9_clEvENKSA_clEvEUlfE_EEvPT_PKmlT0_T1_.uses_flat_scratch, 0
	.set _ZN2at6native12_GLOBAL__N_124philox_single_key_kernelIN3c104HalfEZZZZNS0_20_philox_normal_cuda_ERNS_6TensorERKS5_ddENKUlvE_clEvENKUlvE1_clEvENKUlvE_clEvEUlmmE0_ZZZNS0_20_philox_normal_cuda_ES6_S8_ddENKS9_clEvENKSA_clEvEUlfE_EEvPT_PKmlT0_T1_.has_dyn_sized_stack, 0
	.set _ZN2at6native12_GLOBAL__N_124philox_single_key_kernelIN3c104HalfEZZZZNS0_20_philox_normal_cuda_ERNS_6TensorERKS5_ddENKUlvE_clEvENKUlvE1_clEvENKUlvE_clEvEUlmmE0_ZZZNS0_20_philox_normal_cuda_ES6_S8_ddENKS9_clEvENKSA_clEvEUlfE_EEvPT_PKmlT0_T1_.has_recursion, 0
	.set _ZN2at6native12_GLOBAL__N_124philox_single_key_kernelIN3c104HalfEZZZZNS0_20_philox_normal_cuda_ERNS_6TensorERKS5_ddENKUlvE_clEvENKUlvE1_clEvENKUlvE_clEvEUlmmE0_ZZZNS0_20_philox_normal_cuda_ES6_S8_ddENKS9_clEvENKSA_clEvEUlfE_EEvPT_PKmlT0_T1_.has_indirect_call, 0
	.section	.AMDGPU.csdata,"",@progbits
; Kernel info:
; codeLenInByte = 2696
; TotalNumSgprs: 27
; NumVgprs: 14
; ScratchSize: 0
; MemoryBound: 0
; FloatMode: 240
; IeeeMode: 1
; LDSByteSize: 16384 bytes/workgroup (compile time only)
; SGPRBlocks: 3
; VGPRBlocks: 3
; NumSGPRsForWavesPerEU: 27
; NumVGPRsForWavesPerEU: 14
; Occupancy: 8
; WaveLimiterHint : 0
; COMPUTE_PGM_RSRC2:SCRATCH_EN: 0
; COMPUTE_PGM_RSRC2:USER_SGPR: 8
; COMPUTE_PGM_RSRC2:TRAP_HANDLER: 0
; COMPUTE_PGM_RSRC2:TGID_X_EN: 1
; COMPUTE_PGM_RSRC2:TGID_Y_EN: 0
; COMPUTE_PGM_RSRC2:TGID_Z_EN: 0
; COMPUTE_PGM_RSRC2:TIDIG_COMP_CNT: 2
	.section	.text._ZN2at6native12_GLOBAL__N_123philox_multi_key_kernelIN3c104HalfEZZZZNS0_20_philox_normal_cuda_ERNS_6TensorERKS5_ddENKUlvE_clEvENKUlvE1_clEvENKUlvE_clEvEUlmmE0_ZZZNS0_20_philox_normal_cuda_ES6_S8_ddENKS9_clEvENKSA_clEvEUlfE_EEvPT_PKmllT0_T1_16OffsetCalculatorILi1EjLb0EE,"axG",@progbits,_ZN2at6native12_GLOBAL__N_123philox_multi_key_kernelIN3c104HalfEZZZZNS0_20_philox_normal_cuda_ERNS_6TensorERKS5_ddENKUlvE_clEvENKUlvE1_clEvENKUlvE_clEvEUlmmE0_ZZZNS0_20_philox_normal_cuda_ES6_S8_ddENKS9_clEvENKSA_clEvEUlfE_EEvPT_PKmllT0_T1_16OffsetCalculatorILi1EjLb0EE,comdat
	.globl	_ZN2at6native12_GLOBAL__N_123philox_multi_key_kernelIN3c104HalfEZZZZNS0_20_philox_normal_cuda_ERNS_6TensorERKS5_ddENKUlvE_clEvENKUlvE1_clEvENKUlvE_clEvEUlmmE0_ZZZNS0_20_philox_normal_cuda_ES6_S8_ddENKS9_clEvENKSA_clEvEUlfE_EEvPT_PKmllT0_T1_16OffsetCalculatorILi1EjLb0EE ; -- Begin function _ZN2at6native12_GLOBAL__N_123philox_multi_key_kernelIN3c104HalfEZZZZNS0_20_philox_normal_cuda_ERNS_6TensorERKS5_ddENKUlvE_clEvENKUlvE1_clEvENKUlvE_clEvEUlmmE0_ZZZNS0_20_philox_normal_cuda_ES6_S8_ddENKS9_clEvENKSA_clEvEUlfE_EEvPT_PKmllT0_T1_16OffsetCalculatorILi1EjLb0EE
	.p2align	8
	.type	_ZN2at6native12_GLOBAL__N_123philox_multi_key_kernelIN3c104HalfEZZZZNS0_20_philox_normal_cuda_ERNS_6TensorERKS5_ddENKUlvE_clEvENKUlvE1_clEvENKUlvE_clEvEUlmmE0_ZZZNS0_20_philox_normal_cuda_ES6_S8_ddENKS9_clEvENKSA_clEvEUlfE_EEvPT_PKmllT0_T1_16OffsetCalculatorILi1EjLb0EE,@function
_ZN2at6native12_GLOBAL__N_123philox_multi_key_kernelIN3c104HalfEZZZZNS0_20_philox_normal_cuda_ERNS_6TensorERKS5_ddENKUlvE_clEvENKUlvE1_clEvENKUlvE_clEvEUlmmE0_ZZZNS0_20_philox_normal_cuda_ES6_S8_ddENKS9_clEvENKSA_clEvEUlfE_EEvPT_PKmllT0_T1_16OffsetCalculatorILi1EjLb0EE: ; @_ZN2at6native12_GLOBAL__N_123philox_multi_key_kernelIN3c104HalfEZZZZNS0_20_philox_normal_cuda_ERNS_6TensorERKS5_ddENKUlvE_clEvENKUlvE1_clEvENKUlvE_clEvEUlmmE0_ZZZNS0_20_philox_normal_cuda_ES6_S8_ddENKS9_clEvENKSA_clEvEUlfE_EEvPT_PKmllT0_T1_16OffsetCalculatorILi1EjLb0EE
; %bb.0:
	s_load_dwordx4 s[16:19], s[4:5], 0x10
	s_load_dword s2, s[4:5], 0x13c
	v_mov_b32_e32 v4, 0
	v_mov_b32_e32 v1, v4
	;; [unrolled: 1-line block ×3, first 2 shown]
	s_waitcnt lgkmcnt(0)
	s_add_u32 s0, s18, 3
	s_addc_u32 s1, s19, 0
	s_ashr_i32 s3, s1, 31
	s_lshr_b32 s3, s3, 30
	s_add_u32 s0, s0, s3
	s_addc_u32 s1, s1, 0
	s_ashr_i64 s[24:25], s[0:1], 2
	s_mul_i32 s0, s24, s17
	s_mul_hi_u32 s1, s24, s16
	s_add_i32 s3, s1, s0
	s_and_b32 s0, s2, 0xffff
	v_mad_u64_u32 v[2:3], s[0:1], s0, v2, v[0:1]
	s_mul_i32 s0, s25, s16
	s_add_i32 s1, s3, s0
	s_mul_i32 s0, s24, s16
	v_cmp_gt_i64_e32 vcc, s[0:1], v[2:3]
	s_and_saveexec_b64 s[0:1], vcc
	s_cbranch_execz .LBB13_23
; %bb.1:
	v_or_b32_e32 v5, s25, v3
	v_cmp_ne_u64_e32 vcc, 0, v[4:5]
                                        ; implicit-def: $vgpr0_vgpr1
	s_and_saveexec_b64 s[0:1], vcc
	s_xor_b64 s[2:3], exec, s[0:1]
	s_cbranch_execz .LBB13_3
; %bb.2:
	s_ashr_i32 s6, s25, 31
	s_add_u32 s0, s24, s6
	s_mov_b32 s7, s6
	s_addc_u32 s1, s25, s6
	s_xor_b64 s[8:9], s[0:1], s[6:7]
	v_cvt_f32_u32_e32 v0, s8
	v_cvt_f32_u32_e32 v1, s9
	s_sub_u32 s7, 0, s8
	s_subb_u32 s10, 0, s9
	v_ashrrev_i32_e32 v6, 31, v3
	v_madmk_f32 v0, v1, 0x4f800000, v0
	v_rcp_f32_e32 v0, v0
	v_mul_f32_e32 v0, 0x5f7ffffc, v0
	v_mul_f32_e32 v1, 0x2f800000, v0
	v_trunc_f32_e32 v1, v1
	v_madmk_f32 v0, v1, 0xcf800000, v0
	v_cvt_u32_f32_e32 v1, v1
	v_cvt_u32_f32_e32 v0, v0
	v_readfirstlane_b32 s11, v1
	v_readfirstlane_b32 s0, v0
	s_mul_i32 s1, s7, s11
	s_mul_hi_u32 s13, s7, s0
	s_mul_i32 s12, s10, s0
	s_add_i32 s1, s13, s1
	s_add_i32 s1, s1, s12
	s_mul_i32 s14, s7, s0
	s_mul_i32 s13, s0, s1
	s_mul_hi_u32 s15, s0, s14
	s_mul_hi_u32 s12, s0, s1
	s_add_u32 s13, s15, s13
	s_addc_u32 s12, 0, s12
	s_mul_hi_u32 s16, s11, s14
	s_mul_i32 s14, s11, s14
	s_add_u32 s13, s13, s14
	s_mul_hi_u32 s15, s11, s1
	s_addc_u32 s12, s12, s16
	s_addc_u32 s13, s15, 0
	s_mul_i32 s1, s11, s1
	s_add_u32 s1, s12, s1
	s_addc_u32 s12, 0, s13
	s_add_u32 s13, s0, s1
	s_cselect_b64 s[0:1], -1, 0
	s_cmp_lg_u64 s[0:1], 0
	s_addc_u32 s11, s11, s12
	s_mul_i32 s0, s7, s11
	s_mul_hi_u32 s1, s7, s13
	s_add_i32 s0, s1, s0
	s_mul_i32 s10, s10, s13
	s_add_i32 s0, s0, s10
	s_mul_i32 s7, s7, s13
	s_mul_hi_u32 s10, s11, s7
	s_mul_i32 s12, s11, s7
	s_mul_i32 s15, s13, s0
	s_mul_hi_u32 s7, s13, s7
	s_mul_hi_u32 s14, s13, s0
	s_add_u32 s7, s7, s15
	s_addc_u32 s14, 0, s14
	s_add_u32 s7, s7, s12
	s_mul_hi_u32 s1, s11, s0
	s_addc_u32 s7, s14, s10
	s_addc_u32 s1, s1, 0
	s_mul_i32 s0, s11, s0
	s_add_u32 s0, s7, s0
	s_addc_u32 s7, 0, s1
	s_add_u32 s10, s13, s0
	s_cselect_b64 s[0:1], -1, 0
	s_cmp_lg_u64 s[0:1], 0
	v_add_co_u32_e32 v0, vcc, v2, v6
	s_addc_u32 s7, s11, s7
	v_xor_b32_e32 v7, v0, v6
	v_mad_u64_u32 v[0:1], s[0:1], v7, s7, 0
	v_mul_hi_u32 v5, v7, s10
	v_addc_co_u32_e32 v4, vcc, v3, v6, vcc
	v_xor_b32_e32 v8, v4, v6
	v_add_co_u32_e32 v9, vcc, v5, v0
	v_addc_co_u32_e32 v10, vcc, 0, v1, vcc
	v_mad_u64_u32 v[0:1], s[0:1], v8, s10, 0
	v_mad_u64_u32 v[4:5], s[0:1], v8, s7, 0
	v_add_co_u32_e32 v0, vcc, v9, v0
	v_addc_co_u32_e32 v0, vcc, v10, v1, vcc
	v_addc_co_u32_e32 v1, vcc, 0, v5, vcc
	v_add_co_u32_e32 v4, vcc, v0, v4
	v_addc_co_u32_e32 v5, vcc, 0, v1, vcc
	v_mul_lo_u32 v9, s9, v4
	v_mul_lo_u32 v10, s8, v5
	v_mad_u64_u32 v[0:1], s[0:1], s8, v4, 0
	v_add3_u32 v1, v1, v10, v9
	v_sub_u32_e32 v9, v8, v1
	v_mov_b32_e32 v10, s9
	v_sub_co_u32_e32 v0, vcc, v7, v0
	v_subb_co_u32_e64 v7, s[0:1], v9, v10, vcc
	v_subrev_co_u32_e64 v9, s[0:1], s8, v0
	v_subbrev_co_u32_e64 v7, s[0:1], 0, v7, s[0:1]
	v_cmp_le_u32_e64 s[0:1], s9, v7
	v_cndmask_b32_e64 v10, 0, -1, s[0:1]
	v_cmp_le_u32_e64 s[0:1], s8, v9
	v_cndmask_b32_e64 v9, 0, -1, s[0:1]
	v_cmp_eq_u32_e64 s[0:1], s9, v7
	v_cndmask_b32_e64 v7, v10, v9, s[0:1]
	v_add_co_u32_e64 v9, s[0:1], 2, v4
	v_subb_co_u32_e32 v1, vcc, v8, v1, vcc
	v_addc_co_u32_e64 v10, s[0:1], 0, v5, s[0:1]
	v_cmp_le_u32_e32 vcc, s9, v1
	v_add_co_u32_e64 v11, s[0:1], 1, v4
	v_cndmask_b32_e64 v8, 0, -1, vcc
	v_cmp_le_u32_e32 vcc, s8, v0
	v_addc_co_u32_e64 v12, s[0:1], 0, v5, s[0:1]
	v_cndmask_b32_e64 v0, 0, -1, vcc
	v_cmp_eq_u32_e32 vcc, s9, v1
	v_cmp_ne_u32_e64 s[0:1], 0, v7
	v_cndmask_b32_e32 v0, v8, v0, vcc
	v_cndmask_b32_e64 v7, v12, v10, s[0:1]
	v_cmp_ne_u32_e32 vcc, 0, v0
	v_cndmask_b32_e64 v1, v11, v9, s[0:1]
	v_cndmask_b32_e32 v0, v5, v7, vcc
	v_cndmask_b32_e32 v1, v4, v1, vcc
	v_xor_b32_e32 v4, s6, v6
	v_xor_b32_e32 v5, v0, v4
	;; [unrolled: 1-line block ×3, first 2 shown]
	v_sub_co_u32_e32 v0, vcc, v0, v4
	v_subb_co_u32_e32 v1, vcc, v5, v4, vcc
.LBB13_3:
	s_andn2_saveexec_b64 s[0:1], s[2:3]
	s_cbranch_execz .LBB13_5
; %bb.4:
	v_cvt_f32_u32_e32 v0, s24
	s_sub_i32 s2, 0, s24
	v_rcp_iflag_f32_e32 v0, v0
	v_mul_f32_e32 v0, 0x4f7ffffe, v0
	v_cvt_u32_f32_e32 v0, v0
	v_mul_lo_u32 v1, s2, v0
	v_mul_hi_u32 v1, v0, v1
	v_add_u32_e32 v0, v0, v1
	v_mul_hi_u32 v0, v2, v0
	v_mul_lo_u32 v1, v0, s24
	v_add_u32_e32 v4, 1, v0
	v_sub_u32_e32 v1, v2, v1
	v_subrev_u32_e32 v5, s24, v1
	v_cmp_le_u32_e32 vcc, s24, v1
	v_cndmask_b32_e32 v1, v1, v5, vcc
	v_cndmask_b32_e32 v0, v0, v4, vcc
	v_add_u32_e32 v4, 1, v0
	v_cmp_le_u32_e32 vcc, s24, v1
	v_cndmask_b32_e32 v0, v0, v4, vcc
	v_mov_b32_e32 v1, 0
.LBB13_5:
	s_or_b64 exec, exec, s[0:1]
	s_load_dword s33, s[4:5], 0x2c
	s_load_dwordx2 s[16:17], s[4:5], 0x8
	s_load_dwordx2 s[6:7], s[4:5], 0x24
	s_add_u32 s26, s4, 44
	s_addc_u32 s27, s5, 0
	s_waitcnt lgkmcnt(0)
	s_add_i32 s0, s33, -1
	s_cmp_lt_u32 s0, 2
	s_cbranch_scc1 .LBB13_11
; %bb.6:
	s_cmp_lg_u32 s33, 0
	s_mov_b32 s34, 0
	s_cbranch_scc0 .LBB13_12
; %bb.7:
	s_min_u32 s35, s0, 15
	s_add_i32 s35, s35, 1
	s_cmp_eq_u32 s0, 2
	s_cbranch_scc1 .LBB13_13
; %bb.8:
	s_and_b32 s34, s35, 28
	s_add_u32 s28, s26, 0xc4
	s_addc_u32 s29, s27, 0
	s_mov_b32 s36, 0
	v_mov_b32_e32 v4, 0
	s_mov_b64 s[30:31], s[26:27]
	v_mov_b32_e32 v5, v0
.LBB13_9:                               ; =>This Inner Loop Header: Depth=1
	s_load_dwordx8 s[8:15], s[30:31], 0x4
	s_load_dwordx4 s[0:3], s[30:31], 0x24
	s_load_dwordx4 s[20:23], s[28:29], 0x0
	s_add_u32 s30, s30, 48
	s_addc_u32 s31, s31, 0
	s_waitcnt lgkmcnt(0)
	v_mul_hi_u32 v6, s9, v5
	s_add_i32 s36, s36, 4
	s_add_u32 s28, s28, 16
	s_addc_u32 s29, s29, 0
	v_add_u32_e32 v6, v5, v6
	v_lshrrev_b32_e32 v6, s10, v6
	v_mul_lo_u32 v7, v6, s8
	v_mul_hi_u32 v8, s12, v6
	s_cmp_lg_u32 s34, s36
	v_sub_u32_e32 v5, v5, v7
	v_add_u32_e32 v7, v6, v8
	v_lshrrev_b32_e32 v7, s13, v7
	v_mul_lo_u32 v8, v5, s20
	v_mul_hi_u32 v5, s15, v7
	v_mul_lo_u32 v10, v7, s11
	v_add_u32_e32 v5, v7, v5
	v_lshrrev_b32_e32 v9, s0, v5
	v_mul_hi_u32 v5, s2, v9
	v_sub_u32_e32 v6, v6, v10
	v_mul_lo_u32 v10, v9, s14
	v_mul_lo_u32 v6, v6, s21
	v_add_u32_e32 v5, v9, v5
	v_lshrrev_b32_e32 v5, s3, v5
	v_mul_lo_u32 v11, v5, s1
	v_sub_u32_e32 v7, v7, v10
	v_mul_lo_u32 v7, v7, s22
	v_add3_u32 v4, v8, v4, v6
	v_sub_u32_e32 v9, v9, v11
	v_mul_lo_u32 v9, v9, s23
	v_add3_u32 v4, v7, v4, v9
	s_cbranch_scc1 .LBB13_9
; %bb.10:
	s_and_b32 s8, s35, 3
	s_cmp_eq_u32 s8, 0
	s_cbranch_scc0 .LBB13_14
	s_branch .LBB13_16
.LBB13_11:
                                        ; implicit-def: $vgpr4
	s_load_dwordx2 s[4:5], s[4:5], 0x0
	s_branch .LBB13_17
.LBB13_12:
	v_mov_b32_e32 v4, 0
	s_branch .LBB13_16
.LBB13_13:
	v_mov_b32_e32 v4, 0
	v_mov_b32_e32 v5, v0
	s_and_b32 s8, s35, 3
	s_cmp_eq_u32 s8, 0
	s_cbranch_scc1 .LBB13_16
.LBB13_14:
	s_lshl_b32 s0, s34, 2
	s_add_u32 s0, s26, s0
	s_addc_u32 s1, s27, 0
	s_add_u32 s0, s0, 0xc4
	s_addc_u32 s1, s1, 0
	s_mul_i32 s2, s34, 12
	s_add_u32 s2, s26, s2
	s_addc_u32 s3, s27, 0
.LBB13_15:                              ; =>This Inner Loop Header: Depth=1
	s_load_dwordx2 s[10:11], s[2:3], 0x4
	s_load_dword s9, s[2:3], 0xc
	s_add_u32 s2, s2, 12
	s_addc_u32 s3, s3, 0
	s_waitcnt lgkmcnt(0)
	v_mul_hi_u32 v6, s11, v5
	s_load_dword s11, s[0:1], 0x0
	s_add_u32 s0, s0, 4
	s_addc_u32 s1, s1, 0
	v_add_u32_e32 v6, v5, v6
	v_lshrrev_b32_e32 v6, s9, v6
	v_mul_lo_u32 v7, v6, s10
	s_add_i32 s8, s8, -1
	s_cmp_lg_u32 s8, 0
	v_sub_u32_e32 v5, v5, v7
	s_waitcnt lgkmcnt(0)
	v_mad_u64_u32 v[4:5], s[10:11], v5, s11, v[4:5]
	v_mov_b32_e32 v5, v6
	s_cbranch_scc1 .LBB13_15
.LBB13_16:
	s_load_dwordx2 s[4:5], s[4:5], 0x0
	s_cbranch_execnz .LBB13_19
.LBB13_17:
	s_load_dwordx4 s[0:3], s[26:27], 0x4
	s_waitcnt lgkmcnt(0)
	s_load_dword s3, s[26:27], 0xc4
	s_cmp_lt_u32 s33, 2
	v_mul_hi_u32 v4, v0, s1
	v_add_u32_e32 v4, v4, v0
	v_lshrrev_b32_e32 v5, s2, v4
	v_mul_lo_u32 v4, v5, s0
	v_sub_u32_e32 v4, v0, v4
	s_waitcnt lgkmcnt(0)
	v_mul_lo_u32 v4, v4, s3
	s_cbranch_scc1 .LBB13_19
; %bb.18:
	s_load_dwordx4 s[0:3], s[26:27], 0x10
	s_waitcnt lgkmcnt(0)
	s_load_dword s3, s[26:27], 0xc8
                                        ; kill: killed $sgpr26 killed $sgpr27
	v_mul_hi_u32 v6, s1, v5
	v_add_u32_e32 v6, v5, v6
	v_lshrrev_b32_e32 v6, s2, v6
	v_mul_lo_u32 v6, v6, s0
	v_sub_u32_e32 v5, v5, v6
	s_waitcnt lgkmcnt(0)
	v_mad_u64_u32 v[4:5], s[0:1], v5, s3, v[4:5]
.LBB13_19:
	v_mov_b32_e32 v5, 0
	v_lshlrev_b64 v[6:7], 3, v[4:5]
	v_add_u32_e32 v4, 1, v4
	v_mov_b32_e32 v8, s17
	v_add_co_u32_e32 v6, vcc, s16, v6
	v_lshlrev_b64 v[4:5], 3, v[4:5]
	v_addc_co_u32_e32 v7, vcc, v8, v7, vcc
	v_add_co_u32_e32 v4, vcc, s16, v4
	v_addc_co_u32_e32 v5, vcc, v8, v5, vcc
	global_load_dwordx2 v[6:7], v[6:7], off
	v_mul_lo_u32 v8, v1, s24
	global_load_dwordx2 v[13:14], v[4:5], off
	v_mul_lo_u32 v9, v0, s25
	v_mad_u64_u32 v[4:5], s[0:1], v0, s24, 0
	s_mov_b32 s0, 0xd2511f53
	s_mov_b32 s1, 0xcd9e8d57
	v_add3_u32 v5, v5, v9, v8
	v_sub_co_u32_e32 v2, vcc, v2, v4
	v_subb_co_u32_e32 v3, vcc, v3, v5, vcc
	s_mov_b32 s2, 0x800000
	s_mov_b32 s8, 0x3f317217
	;; [unrolled: 1-line block ×5, first 2 shown]
	s_waitcnt vmcnt(1)
	v_add_u32_e32 v20, 0xbb67ae85, v7
	v_add_u32_e32 v22, 0x76cf5d0a, v7
	s_waitcnt vmcnt(0)
	v_add_co_u32_e32 v23, vcc, v13, v2
	v_mul_hi_u32 v15, v23, s0
	v_mul_lo_u32 v23, v23, s0
	v_addc_co_u32_e32 v14, vcc, v14, v3, vcc
	v_xor_b32_e32 v14, v14, v6
	v_xor_b32_e32 v20, v23, v20
	v_mul_hi_u32 v23, v14, s0
	v_mul_lo_u32 v14, v14, s0
	v_xor_b32_e32 v24, v15, v7
	v_add_u32_e32 v19, 0x9e3779b9, v6
	v_xor_b32_e32 v20, v20, v23
	v_xor_b32_e32 v22, v14, v22
	v_mul_hi_u32 v14, v24, s1
	v_mul_lo_u32 v23, v24, s1
	v_add_u32_e32 v21, 0x3c6ef372, v6
	v_mul_hi_u32 v24, v20, s1
	v_xor_b32_e32 v19, v19, v14
	v_xor_b32_e32 v21, v23, v21
	v_mul_hi_u32 v23, v19, s0
	v_mul_lo_u32 v20, v20, s1
	v_xor_b32_e32 v21, v21, v24
	v_add_u32_e32 v18, 0xdaa66d2b, v6
	v_xor_b32_e32 v22, v22, v23
	v_mul_hi_u32 v23, v21, s0
	v_mul_lo_u32 v21, v21, s0
	v_xor_b32_e32 v20, v20, v18
	v_mul_lo_u32 v18, v19, s0
	v_add_u32_e32 v16, 0xed9eba14, v7
	v_xor_b32_e32 v16, v21, v16
	v_mul_hi_u32 v21, v22, s1
	v_add_u32_e32 v17, 0x32370b8f, v7
	v_xor_b32_e32 v18, v18, v17
	v_xor_b32_e32 v23, v18, v23
	v_mul_lo_u32 v22, v22, s1
	v_xor_b32_e32 v20, v20, v21
	v_mul_hi_u32 v21, v23, s1
	v_mul_lo_u32 v23, v23, s1
	v_add_u32_e32 v12, 0x78dde6e4, v6
	v_xor_b32_e32 v22, v22, v12
	v_add_u32_e32 v9, 0x1715609d, v6
	v_xor_b32_e32 v21, v22, v21
	v_mul_hi_u32 v22, v20, s0
	v_mul_lo_u32 v20, v20, s0
	v_xor_b32_e32 v9, v23, v9
	v_mul_hi_u32 v23, v21, s0
	v_mul_lo_u32 v21, v21, s0
	v_add_u32_e32 v5, 0xa9066899, v7
	v_xor_b32_e32 v16, v16, v22
	v_xor_b32_e32 v5, v20, v5
	v_add_u32_e32 v11, 0x646e171e, v7
	v_xor_b32_e32 v5, v5, v23
	v_mul_hi_u32 v20, v16, s1
	v_xor_b32_e32 v11, v21, v11
	v_mul_hi_u32 v21, v5, s1
	v_mul_lo_u32 v5, v5, s1
	v_add_u32_e32 v13, 0x5384540f, v6
	v_xor_b32_e32 v9, v9, v20
	v_mul_lo_u32 v16, v16, s1
	v_xor_b32_e32 v5, v5, v13
	v_mul_hi_u32 v13, v9, s0
	v_mul_lo_u32 v9, v9, s0
	v_add_u32_e32 v8, 0xb54cda56, v6
	v_add_u32_e32 v10, 0x1fd5c5a3, v7
	v_xor_b32_e32 v8, v16, v8
	v_xor_b32_e32 v11, v11, v13
	;; [unrolled: 1-line block ×4, first 2 shown]
	v_mul_hi_u32 v10, v11, s1
	v_mul_hi_u32 v16, v8, s0
	v_mul_lo_u32 v8, v8, s0
	v_add_u32_e32 v15, 0xdb3d7428, v7
	v_xor_b32_e32 v5, v5, v10
	v_xor_b32_e32 v9, v9, v16
	v_mul_hi_u32 v10, v5, s0
	v_mul_hi_u32 v13, v9, s1
	v_mul_lo_u32 v9, v9, s1
	v_xor_b32_e32 v8, v8, v15
	v_add_u32_e32 v4, 0x8ff34781, v6
	v_xor_b32_e32 v8, v8, v10
	v_xor_b32_e32 v4, v9, v4
	v_mul_hi_u32 v9, v8, s1
	v_mov_b32_e32 v19, 0x2f000000
	v_mul_lo_u32 v11, v11, s1
	v_mul_lo_u32 v5, v5, s0
	v_xor_b32_e32 v4, v4, v9
	v_cvt_f32_u32_e32 v4, v4
	v_add_u32_e32 v6, 0xf1bbcdc8, v6
	v_add_u32_e32 v7, 0x96a522ad, v7
	v_mov_b32_e32 v12, 0x41b17218
	v_fmac_f32_e32 v19, 0x2f800000, v4
	v_cmp_gt_f32_e32 vcc, s2, v19
	v_cndmask_b32_e64 v4, 0, 32, vcc
	v_ldexp_f32 v4, v19, v4
	v_log_f32_e32 v4, v4
	v_xor_b32_e32 v6, v11, v6
	v_xor_b32_e32 v6, v6, v13
	;; [unrolled: 1-line block ×3, first 2 shown]
	v_mul_f32_e32 v9, 0x3f317217, v4
	v_fma_f32 v9, v4, s8, -v9
	v_fmac_f32_e32 v9, 0x3377d1cf, v4
	v_mul_lo_u32 v7, v8, s1
	v_cndmask_b32_e32 v8, 0, v12, vcc
	v_fmac_f32_e32 v9, 0x3f317217, v4
	v_cmp_lt_f32_e64 vcc, |v4|, s10
	v_mul_hi_u32 v10, v6, s0
	v_cndmask_b32_e32 v4, v4, v9, vcc
	v_sub_f32_e32 v4, v4, v8
	v_mul_f32_e32 v4, -2.0, v4
	v_mul_f32_e32 v8, 0x4f800000, v4
	v_cmp_gt_f32_e32 vcc, s11, v4
	v_xor_b32_e32 v5, v5, v10
	v_cndmask_b32_e32 v4, v4, v8, vcc
	v_cvt_f32_u32_e32 v5, v5
	v_sqrt_f32_e32 v8, v4
	v_mul_lo_u32 v6, v6, s0
	v_cvt_f32_u32_e32 v7, v7
	v_mov_b32_e32 v18, 0x2f000000
	v_mov_b32_e32 v17, 0x2f000000
	v_fmac_f32_e32 v18, 0x2f800000, v5
	v_add_u32_e32 v5, -1, v8
	v_cvt_f32_u32_e32 v6, v6
	v_fmac_f32_e32 v17, 0x2f800000, v7
	v_fma_f32 v7, -v5, v8, v4
	v_cmp_ge_f32_e64 s[0:1], 0, v7
	v_cndmask_b32_e64 v5, v8, v5, s[0:1]
	v_cmp_gt_f32_e64 s[0:1], s2, v18
	v_mov_b32_e32 v14, 0x2f000000
	v_cndmask_b32_e64 v7, 0, 32, s[0:1]
	v_fmac_f32_e32 v14, 0x2f800000, v6
	v_add_u32_e32 v6, 1, v8
	v_ldexp_f32 v7, v18, v7
	v_fma_f32 v9, -v6, v8, v4
	v_log_f32_e32 v7, v7
	v_cmp_lt_f32_e64 s[2:3], 0, v9
	v_cndmask_b32_e64 v5, v5, v6, s[2:3]
	v_mul_f32_e32 v6, 0x37800000, v5
	v_cndmask_b32_e32 v5, v5, v6, vcc
	v_mul_f32_e32 v6, 0x3f317217, v7
	v_fma_f32 v6, v7, s8, -v6
	v_fmac_f32_e32 v6, 0x3377d1cf, v7
	v_fmac_f32_e32 v6, 0x3f317217, v7
	v_cmp_lt_f32_e64 vcc, |v7|, s10
	v_cndmask_b32_e32 v6, v7, v6, vcc
	v_cndmask_b32_e64 v7, 0, v12, s[0:1]
	v_sub_f32_e32 v6, v6, v7
	v_mul_f32_e32 v6, -2.0, v6
	v_mul_f32_e32 v7, 0x4f800000, v6
	v_cmp_gt_f32_e32 vcc, s11, v6
	v_cndmask_b32_e32 v6, v6, v7, vcc
	v_sqrt_f32_e32 v7, v6
	v_mov_b32_e32 v8, 0x260
	v_cmp_class_f32_e64 s[0:1], v4, v8
	v_cndmask_b32_e64 v4, v5, v4, s[0:1]
	v_add_u32_e32 v5, -1, v7
	v_fma_f32 v9, -v5, v7, v6
	v_cmp_ge_f32_e64 s[0:1], 0, v9
	v_add_u32_e32 v9, 1, v7
	v_cndmask_b32_e64 v5, v7, v5, s[0:1]
	v_fma_f32 v7, -v9, v7, v6
	v_cmp_lt_f32_e64 s[0:1], 0, v7
	v_cndmask_b32_e64 v5, v5, v9, s[0:1]
	v_mul_f32_e32 v7, 0x37800000, v5
	v_cndmask_b32_e32 v5, v5, v7, vcc
	v_mul_f32_e32 v7, 0x40c90fdb, v17
	v_mul_f32_e32 v7, 0.15915494, v7
	v_sin_f32_e32 v9, v7
	v_cos_f32_e32 v10, v7
	v_mul_f32_e32 v7, 0x40c90fdb, v14
	v_mul_f32_e32 v7, 0.15915494, v7
	v_cos_f32_e32 v11, v7
	v_cmp_class_f32_e32 vcc, v6, v8
	v_cndmask_b32_e32 v6, v5, v6, vcc
	v_mul_f32_e32 v10, v10, v4
	v_mul_f32_e32 v9, v9, v4
	v_lshlrev_b64 v[4:5], 2, v[2:3]
	s_and_b32 s8, s18, 3
	v_mul_f32_e32 v8, v11, v6
	s_cmp_lg_u64 s[8:9], 0
	v_mul_lo_u32 v11, v0, s19
	v_mul_lo_u32 v12, v1, s18
	v_mad_u64_u32 v[0:1], s[8:9], v0, s18, v[4:5]
	s_cselect_b64 s[0:1], -1, 0
	s_ashr_i32 s8, s19, 31
	s_lshr_b32 s8, s8, 30
	s_add_u32 s8, s18, s8
	s_addc_u32 s9, s19, 0
	s_ashr_i64 s[8:9], s[8:9], 2
	v_cmp_le_i64_e32 vcc, s[8:9], v[2:3]
	s_mov_b64 s[2:3], 0
	v_add3_u32 v1, v12, v1, v11
	s_or_b64 s[0:1], s[0:1], vcc
	s_and_saveexec_b64 s[8:9], s[0:1]
	s_xor_b64 s[0:1], exec, s[8:9]
	s_cbranch_execnz .LBB13_24
; %bb.20:
	s_andn2_saveexec_b64 s[0:1], s[0:1]
	s_cbranch_execnz .LBB13_31
.LBB13_21:
	s_or_b64 exec, exec, s[0:1]
	s_and_b64 exec, exec, s[2:3]
	s_cbranch_execz .LBB13_23
.LBB13_22:
	v_sin_f32_e32 v2, v7
	v_lshlrev_b64 v[0:1], 1, v[0:1]
	s_waitcnt lgkmcnt(0)
	v_mov_b32_e32 v3, s5
	v_add_co_u32_e32 v0, vcc, s4, v0
	v_mul_f32_e32 v2, v2, v6
	v_addc_co_u32_e32 v1, vcc, v3, v1, vcc
	v_mov_b32_e32 v3, s6
	v_fma_mixlo_f16 v2, s7, v2, v3
	global_store_short v[0:1], v2, off offset:6
.LBB13_23:
	s_endpgm
.LBB13_24:
	v_cmp_gt_i64_e32 vcc, s[18:19], v[4:5]
	s_mov_b64 s[8:9], 0
	s_and_saveexec_b64 s[2:3], vcc
	s_cbranch_execz .LBB13_30
; %bb.25:
	v_lshlrev_b64 v[2:3], 1, v[0:1]
	s_waitcnt lgkmcnt(0)
	v_mov_b32_e32 v11, s5
	v_add_co_u32_e32 v2, vcc, s4, v2
	v_addc_co_u32_e32 v3, vcc, v11, v3, vcc
	v_mov_b32_e32 v11, s6
	v_fma_mixlo_f16 v10, s7, v10, v11
	global_store_short v[2:3], v10, off
	v_or_b32_e32 v10, 1, v4
	v_mov_b32_e32 v11, v5
	v_cmp_gt_u64_e32 vcc, s[18:19], v[10:11]
	s_mov_b64 s[10:11], 0
	s_and_saveexec_b64 s[8:9], vcc
	s_cbranch_execz .LBB13_29
; %bb.26:
	v_mov_b32_e32 v10, s6
	v_fma_mixlo_f16 v9, s7, v9, v10
	global_store_short v[2:3], v9, off offset:2
	v_or_b32_e32 v9, 2, v4
	v_mov_b32_e32 v10, v5
	v_cmp_gt_u64_e32 vcc, s[18:19], v[9:10]
	s_mov_b64 s[12:13], 0
	s_and_saveexec_b64 s[10:11], vcc
	s_xor_b64 s[10:11], exec, s[10:11]
	s_cbranch_execz .LBB13_28
; %bb.27:
	v_or_b32_e32 v4, 3, v4
	v_cmp_gt_u64_e32 vcc, s[18:19], v[4:5]
	v_mov_b32_e32 v9, s6
	v_fma_mixlo_f16 v8, s7, v8, v9
	s_and_b64 s[12:13], vcc, exec
	global_store_short v[2:3], v8, off offset:4
.LBB13_28:
	s_or_b64 exec, exec, s[10:11]
	s_and_b64 s[10:11], s[12:13], exec
.LBB13_29:
	s_or_b64 exec, exec, s[8:9]
	s_and_b64 s[8:9], s[10:11], exec
.LBB13_30:
	s_or_b64 exec, exec, s[2:3]
	s_and_b64 s[2:3], s[8:9], exec
                                        ; implicit-def: $vgpr10
                                        ; implicit-def: $vgpr8
                                        ; implicit-def: $vgpr9
	s_andn2_saveexec_b64 s[0:1], s[0:1]
	s_cbranch_execz .LBB13_21
.LBB13_31:
	v_lshlrev_b64 v[2:3], 1, v[0:1]
	v_mov_b32_e32 v4, s6
	v_fma_mixlo_f16 v5, s7, v10, v4
	s_waitcnt lgkmcnt(0)
	v_mov_b32_e32 v10, s5
	v_add_co_u32_e32 v2, vcc, s4, v2
	v_fma_mixlo_f16 v8, s7, v8, v4
	v_addc_co_u32_e32 v3, vcc, v10, v3, vcc
	s_or_b64 s[2:3], s[2:3], exec
	v_fma_mixhi_f16 v5, s7, v9, v4
	global_store_short v[2:3], v8, off offset:4
	global_store_dword v[2:3], v5, off
	s_or_b64 exec, exec, s[0:1]
	s_and_b64 exec, exec, s[2:3]
	s_cbranch_execnz .LBB13_22
	s_branch .LBB13_23
	.section	.rodata,"a",@progbits
	.p2align	6, 0x0
	.amdhsa_kernel _ZN2at6native12_GLOBAL__N_123philox_multi_key_kernelIN3c104HalfEZZZZNS0_20_philox_normal_cuda_ERNS_6TensorERKS5_ddENKUlvE_clEvENKUlvE1_clEvENKUlvE_clEvEUlmmE0_ZZZNS0_20_philox_normal_cuda_ES6_S8_ddENKS9_clEvENKSA_clEvEUlfE_EEvPT_PKmllT0_T1_16OffsetCalculatorILi1EjLb0EE
		.amdhsa_group_segment_fixed_size 0
		.amdhsa_private_segment_fixed_size 0
		.amdhsa_kernarg_size 560
		.amdhsa_user_sgpr_count 6
		.amdhsa_user_sgpr_private_segment_buffer 1
		.amdhsa_user_sgpr_dispatch_ptr 0
		.amdhsa_user_sgpr_queue_ptr 0
		.amdhsa_user_sgpr_kernarg_segment_ptr 1
		.amdhsa_user_sgpr_dispatch_id 0
		.amdhsa_user_sgpr_flat_scratch_init 0
		.amdhsa_user_sgpr_private_segment_size 0
		.amdhsa_uses_dynamic_stack 0
		.amdhsa_system_sgpr_private_segment_wavefront_offset 0
		.amdhsa_system_sgpr_workgroup_id_x 1
		.amdhsa_system_sgpr_workgroup_id_y 0
		.amdhsa_system_sgpr_workgroup_id_z 0
		.amdhsa_system_sgpr_workgroup_info 0
		.amdhsa_system_vgpr_workitem_id 0
		.amdhsa_next_free_vgpr 25
		.amdhsa_next_free_sgpr 37
		.amdhsa_reserve_vcc 1
		.amdhsa_reserve_flat_scratch 0
		.amdhsa_float_round_mode_32 0
		.amdhsa_float_round_mode_16_64 0
		.amdhsa_float_denorm_mode_32 3
		.amdhsa_float_denorm_mode_16_64 3
		.amdhsa_dx10_clamp 1
		.amdhsa_ieee_mode 1
		.amdhsa_fp16_overflow 0
		.amdhsa_exception_fp_ieee_invalid_op 0
		.amdhsa_exception_fp_denorm_src 0
		.amdhsa_exception_fp_ieee_div_zero 0
		.amdhsa_exception_fp_ieee_overflow 0
		.amdhsa_exception_fp_ieee_underflow 0
		.amdhsa_exception_fp_ieee_inexact 0
		.amdhsa_exception_int_div_zero 0
	.end_amdhsa_kernel
	.section	.text._ZN2at6native12_GLOBAL__N_123philox_multi_key_kernelIN3c104HalfEZZZZNS0_20_philox_normal_cuda_ERNS_6TensorERKS5_ddENKUlvE_clEvENKUlvE1_clEvENKUlvE_clEvEUlmmE0_ZZZNS0_20_philox_normal_cuda_ES6_S8_ddENKS9_clEvENKSA_clEvEUlfE_EEvPT_PKmllT0_T1_16OffsetCalculatorILi1EjLb0EE,"axG",@progbits,_ZN2at6native12_GLOBAL__N_123philox_multi_key_kernelIN3c104HalfEZZZZNS0_20_philox_normal_cuda_ERNS_6TensorERKS5_ddENKUlvE_clEvENKUlvE1_clEvENKUlvE_clEvEUlmmE0_ZZZNS0_20_philox_normal_cuda_ES6_S8_ddENKS9_clEvENKSA_clEvEUlfE_EEvPT_PKmllT0_T1_16OffsetCalculatorILi1EjLb0EE,comdat
.Lfunc_end13:
	.size	_ZN2at6native12_GLOBAL__N_123philox_multi_key_kernelIN3c104HalfEZZZZNS0_20_philox_normal_cuda_ERNS_6TensorERKS5_ddENKUlvE_clEvENKUlvE1_clEvENKUlvE_clEvEUlmmE0_ZZZNS0_20_philox_normal_cuda_ES6_S8_ddENKS9_clEvENKSA_clEvEUlfE_EEvPT_PKmllT0_T1_16OffsetCalculatorILi1EjLb0EE, .Lfunc_end13-_ZN2at6native12_GLOBAL__N_123philox_multi_key_kernelIN3c104HalfEZZZZNS0_20_philox_normal_cuda_ERNS_6TensorERKS5_ddENKUlvE_clEvENKUlvE1_clEvENKUlvE_clEvEUlmmE0_ZZZNS0_20_philox_normal_cuda_ES6_S8_ddENKS9_clEvENKSA_clEvEUlfE_EEvPT_PKmllT0_T1_16OffsetCalculatorILi1EjLb0EE
                                        ; -- End function
	.set _ZN2at6native12_GLOBAL__N_123philox_multi_key_kernelIN3c104HalfEZZZZNS0_20_philox_normal_cuda_ERNS_6TensorERKS5_ddENKUlvE_clEvENKUlvE1_clEvENKUlvE_clEvEUlmmE0_ZZZNS0_20_philox_normal_cuda_ES6_S8_ddENKS9_clEvENKSA_clEvEUlfE_EEvPT_PKmllT0_T1_16OffsetCalculatorILi1EjLb0EE.num_vgpr, 25
	.set _ZN2at6native12_GLOBAL__N_123philox_multi_key_kernelIN3c104HalfEZZZZNS0_20_philox_normal_cuda_ERNS_6TensorERKS5_ddENKUlvE_clEvENKUlvE1_clEvENKUlvE_clEvEUlmmE0_ZZZNS0_20_philox_normal_cuda_ES6_S8_ddENKS9_clEvENKSA_clEvEUlfE_EEvPT_PKmllT0_T1_16OffsetCalculatorILi1EjLb0EE.num_agpr, 0
	.set _ZN2at6native12_GLOBAL__N_123philox_multi_key_kernelIN3c104HalfEZZZZNS0_20_philox_normal_cuda_ERNS_6TensorERKS5_ddENKUlvE_clEvENKUlvE1_clEvENKUlvE_clEvEUlmmE0_ZZZNS0_20_philox_normal_cuda_ES6_S8_ddENKS9_clEvENKSA_clEvEUlfE_EEvPT_PKmllT0_T1_16OffsetCalculatorILi1EjLb0EE.numbered_sgpr, 37
	.set _ZN2at6native12_GLOBAL__N_123philox_multi_key_kernelIN3c104HalfEZZZZNS0_20_philox_normal_cuda_ERNS_6TensorERKS5_ddENKUlvE_clEvENKUlvE1_clEvENKUlvE_clEvEUlmmE0_ZZZNS0_20_philox_normal_cuda_ES6_S8_ddENKS9_clEvENKSA_clEvEUlfE_EEvPT_PKmllT0_T1_16OffsetCalculatorILi1EjLb0EE.num_named_barrier, 0
	.set _ZN2at6native12_GLOBAL__N_123philox_multi_key_kernelIN3c104HalfEZZZZNS0_20_philox_normal_cuda_ERNS_6TensorERKS5_ddENKUlvE_clEvENKUlvE1_clEvENKUlvE_clEvEUlmmE0_ZZZNS0_20_philox_normal_cuda_ES6_S8_ddENKS9_clEvENKSA_clEvEUlfE_EEvPT_PKmllT0_T1_16OffsetCalculatorILi1EjLb0EE.private_seg_size, 0
	.set _ZN2at6native12_GLOBAL__N_123philox_multi_key_kernelIN3c104HalfEZZZZNS0_20_philox_normal_cuda_ERNS_6TensorERKS5_ddENKUlvE_clEvENKUlvE1_clEvENKUlvE_clEvEUlmmE0_ZZZNS0_20_philox_normal_cuda_ES6_S8_ddENKS9_clEvENKSA_clEvEUlfE_EEvPT_PKmllT0_T1_16OffsetCalculatorILi1EjLb0EE.uses_vcc, 1
	.set _ZN2at6native12_GLOBAL__N_123philox_multi_key_kernelIN3c104HalfEZZZZNS0_20_philox_normal_cuda_ERNS_6TensorERKS5_ddENKUlvE_clEvENKUlvE1_clEvENKUlvE_clEvEUlmmE0_ZZZNS0_20_philox_normal_cuda_ES6_S8_ddENKS9_clEvENKSA_clEvEUlfE_EEvPT_PKmllT0_T1_16OffsetCalculatorILi1EjLb0EE.uses_flat_scratch, 0
	.set _ZN2at6native12_GLOBAL__N_123philox_multi_key_kernelIN3c104HalfEZZZZNS0_20_philox_normal_cuda_ERNS_6TensorERKS5_ddENKUlvE_clEvENKUlvE1_clEvENKUlvE_clEvEUlmmE0_ZZZNS0_20_philox_normal_cuda_ES6_S8_ddENKS9_clEvENKSA_clEvEUlfE_EEvPT_PKmllT0_T1_16OffsetCalculatorILi1EjLb0EE.has_dyn_sized_stack, 0
	.set _ZN2at6native12_GLOBAL__N_123philox_multi_key_kernelIN3c104HalfEZZZZNS0_20_philox_normal_cuda_ERNS_6TensorERKS5_ddENKUlvE_clEvENKUlvE1_clEvENKUlvE_clEvEUlmmE0_ZZZNS0_20_philox_normal_cuda_ES6_S8_ddENKS9_clEvENKSA_clEvEUlfE_EEvPT_PKmllT0_T1_16OffsetCalculatorILi1EjLb0EE.has_recursion, 0
	.set _ZN2at6native12_GLOBAL__N_123philox_multi_key_kernelIN3c104HalfEZZZZNS0_20_philox_normal_cuda_ERNS_6TensorERKS5_ddENKUlvE_clEvENKUlvE1_clEvENKUlvE_clEvEUlmmE0_ZZZNS0_20_philox_normal_cuda_ES6_S8_ddENKS9_clEvENKSA_clEvEUlfE_EEvPT_PKmllT0_T1_16OffsetCalculatorILi1EjLb0EE.has_indirect_call, 0
	.section	.AMDGPU.csdata,"",@progbits
; Kernel info:
; codeLenInByte = 3244
; TotalNumSgprs: 41
; NumVgprs: 25
; ScratchSize: 0
; MemoryBound: 0
; FloatMode: 240
; IeeeMode: 1
; LDSByteSize: 0 bytes/workgroup (compile time only)
; SGPRBlocks: 5
; VGPRBlocks: 6
; NumSGPRsForWavesPerEU: 41
; NumVGPRsForWavesPerEU: 25
; Occupancy: 9
; WaveLimiterHint : 1
; COMPUTE_PGM_RSRC2:SCRATCH_EN: 0
; COMPUTE_PGM_RSRC2:USER_SGPR: 6
; COMPUTE_PGM_RSRC2:TRAP_HANDLER: 0
; COMPUTE_PGM_RSRC2:TGID_X_EN: 1
; COMPUTE_PGM_RSRC2:TGID_Y_EN: 0
; COMPUTE_PGM_RSRC2:TGID_Z_EN: 0
; COMPUTE_PGM_RSRC2:TIDIG_COMP_CNT: 0
	.section	.text._ZN2at6native12_GLOBAL__N_124philox_single_key_kernelIN3c108BFloat16EZZZZNS0_20_philox_normal_cuda_ERNS_6TensorERKS5_ddENKUlvE_clEvENKUlvE2_clEvENKUlvE_clEvEUlmmE0_ZZZNS0_20_philox_normal_cuda_ES6_S8_ddENKS9_clEvENKSA_clEvEUlfE_EEvPT_PKmlT0_T1_,"axG",@progbits,_ZN2at6native12_GLOBAL__N_124philox_single_key_kernelIN3c108BFloat16EZZZZNS0_20_philox_normal_cuda_ERNS_6TensorERKS5_ddENKUlvE_clEvENKUlvE2_clEvENKUlvE_clEvEUlmmE0_ZZZNS0_20_philox_normal_cuda_ES6_S8_ddENKS9_clEvENKSA_clEvEUlfE_EEvPT_PKmlT0_T1_,comdat
	.globl	_ZN2at6native12_GLOBAL__N_124philox_single_key_kernelIN3c108BFloat16EZZZZNS0_20_philox_normal_cuda_ERNS_6TensorERKS5_ddENKUlvE_clEvENKUlvE2_clEvENKUlvE_clEvEUlmmE0_ZZZNS0_20_philox_normal_cuda_ES6_S8_ddENKS9_clEvENKSA_clEvEUlfE_EEvPT_PKmlT0_T1_ ; -- Begin function _ZN2at6native12_GLOBAL__N_124philox_single_key_kernelIN3c108BFloat16EZZZZNS0_20_philox_normal_cuda_ERNS_6TensorERKS5_ddENKUlvE_clEvENKUlvE2_clEvENKUlvE_clEvEUlmmE0_ZZZNS0_20_philox_normal_cuda_ES6_S8_ddENKS9_clEvENKSA_clEvEUlfE_EEvPT_PKmlT0_T1_
	.p2align	8
	.type	_ZN2at6native12_GLOBAL__N_124philox_single_key_kernelIN3c108BFloat16EZZZZNS0_20_philox_normal_cuda_ERNS_6TensorERKS5_ddENKUlvE_clEvENKUlvE2_clEvENKUlvE_clEvEUlmmE0_ZZZNS0_20_philox_normal_cuda_ES6_S8_ddENKS9_clEvENKSA_clEvEUlfE_EEvPT_PKmlT0_T1_,@function
_ZN2at6native12_GLOBAL__N_124philox_single_key_kernelIN3c108BFloat16EZZZZNS0_20_philox_normal_cuda_ERNS_6TensorERKS5_ddENKUlvE_clEvENKUlvE2_clEvENKUlvE_clEvEUlmmE0_ZZZNS0_20_philox_normal_cuda_ES6_S8_ddENKS9_clEvENKSA_clEvEUlfE_EEvPT_PKmlT0_T1_: ; @_ZN2at6native12_GLOBAL__N_124philox_single_key_kernelIN3c108BFloat16EZZZZNS0_20_philox_normal_cuda_ERNS_6TensorERKS5_ddENKUlvE_clEvENKUlvE2_clEvENKUlvE_clEvEUlmmE0_ZZZNS0_20_philox_normal_cuda_ES6_S8_ddENKS9_clEvENKSA_clEvEUlfE_EEvPT_PKmlT0_T1_
; %bb.0:
	s_load_dwordx2 s[18:19], s[6:7], 0x10
	s_load_dwordx4 s[12:15], s[6:7], 0x0
	s_load_dwordx2 s[16:17], s[6:7], 0x1c
	s_load_dword s2, s[6:7], 0x34
	v_mov_b32_e32 v3, v1
	s_waitcnt lgkmcnt(0)
	s_ashr_i32 s0, s19, 31
	s_lshr_b32 s0, s0, 30
	s_add_u32 s0, s18, s0
	s_addc_u32 s1, s19, 0
	s_and_b32 s2, s2, 0xffff
	v_mov_b32_e32 v1, 0
	v_mov_b32_e32 v4, s8
	v_mad_u64_u32 v[4:5], s[2:3], s2, v4, v[0:1]
	s_load_dwordx4 s[8:11], s[14:15], 0x0
	s_ashr_i64 s[6:7], s[0:1], 2
	v_cmp_gt_i64_e32 vcc, s[6:7], v[4:5]
	s_and_saveexec_b64 s[14:15], vcc
	s_cbranch_execz .LBB14_2
; %bb.1:
	s_waitcnt lgkmcnt(0)
	v_add_co_u32_e32 v6, vcc, s10, v4
	s_mov_b32 s0, 0xd2511f53
	v_mul_hi_u32 v7, v6, s0
	v_mov_b32_e32 v1, s11
	v_addc_co_u32_e32 v1, vcc, v5, v1, vcc
	v_xor_b32_e32 v7, s9, v7
	s_mov_b32 s20, 0xcd9e8d57
	v_mul_lo_u32 v6, v6, s0
	v_xor_b32_e32 v1, s8, v1
	v_mul_hi_u32 v8, v7, s20
	v_mul_lo_u32 v9, v1, s0
	v_mul_hi_u32 v1, v1, s0
	s_add_i32 s2, s8, 0x9e3779b9
	s_add_i32 s3, s9, 0xbb67ae85
	v_xor_b32_e32 v8, s2, v8
	v_xor_b32_e32 v6, s3, v6
	v_mul_lo_u32 v7, v7, s20
	v_xor_b32_e32 v1, v6, v1
	v_mul_lo_u32 v6, v8, s0
	v_mul_hi_u32 v8, v8, s0
	v_mul_hi_u32 v10, v1, s20
	s_add_i32 s3, s9, 0x76cf5d0a
	s_add_i32 s2, s8, 0x3c6ef372
	v_xor_b32_e32 v9, s3, v9
	v_mul_lo_u32 v1, v1, s20
	v_xor_b32_e32 v7, s2, v7
	v_xor_b32_e32 v8, v9, v8
	v_xor_b32_e32 v7, v7, v10
	v_mul_hi_u32 v10, v8, s20
	v_mul_lo_u32 v9, v7, s0
	v_mul_hi_u32 v7, v7, s0
	s_add_i32 s2, s8, 0xdaa66d2b
	s_add_i32 s3, s9, 0x32370b8f
	v_xor_b32_e32 v1, s2, v1
	v_xor_b32_e32 v1, v1, v10
	v_xor_b32_e32 v6, s3, v6
	v_mul_lo_u32 v8, v8, s20
	v_xor_b32_e32 v6, v6, v7
	v_mul_lo_u32 v7, v1, s0
	v_mul_hi_u32 v1, v1, s0
	v_mul_hi_u32 v10, v6, s20
	s_add_i32 s3, s9, 0xed9eba14
	s_add_i32 s2, s8, 0x78dde6e4
	v_xor_b32_e32 v9, s3, v9
	v_mul_lo_u32 v6, v6, s20
	v_xor_b32_e32 v8, s2, v8
	v_xor_b32_e32 v1, v9, v1
	v_xor_b32_e32 v8, v8, v10
	v_mul_hi_u32 v10, v1, s20
	v_mul_lo_u32 v9, v8, s0
	v_mul_hi_u32 v8, v8, s0
	s_add_i32 s2, s8, 0x1715609d
	s_add_i32 s3, s9, 0xa9066899
	v_xor_b32_e32 v6, s2, v6
	;; [unrolled: 20-line block ×3, first 2 shown]
	v_xor_b32_e32 v7, v7, v10
	v_xor_b32_e32 v8, s3, v8
	v_mul_lo_u32 v6, v6, s20
	v_xor_b32_e32 v1, v8, v1
	v_mul_lo_u32 v8, v7, s0
	v_mul_hi_u32 v7, v7, s0
	v_mul_hi_u32 v10, v1, s20
	s_add_i32 s3, s9, 0xdb3d7428
	s_add_i32 s2, s8, 0xf1bbcdc8
	v_xor_b32_e32 v9, s3, v9
	v_mul_lo_u32 v1, v1, s20
	v_xor_b32_e32 v6, s2, v6
	v_xor_b32_e32 v7, v9, v7
	;; [unrolled: 1-line block ×3, first 2 shown]
	v_mul_hi_u32 v10, v7, s20
	s_add_i32 s1, s8, 0x8ff34781
	v_mul_lo_u32 v7, v7, s20
	v_xor_b32_e32 v1, s1, v1
	v_xor_b32_e32 v1, v1, v10
	v_cvt_f32_u32_e32 v1, v1
	v_cvt_f32_u32_e32 v7, v7
	s_add_i32 s2, s9, 0x96a522ad
	v_mov_b32_e32 v10, 0x2f000000
	v_xor_b32_e32 v8, s2, v8
	v_fmac_f32_e32 v10, 0x2f800000, v1
	s_mov_b32 s2, 0x800000
	v_mov_b32_e32 v1, 0x2f000000
	v_cmp_gt_f32_e32 vcc, s2, v10
	v_fmac_f32_e32 v1, 0x2f800000, v7
	v_cndmask_b32_e64 v7, 0, 32, vcc
	v_ldexp_f32 v7, v10, v7
	v_log_f32_e32 v7, v7
	s_mov_b32 s20, 0x3f317217
	s_mov_b32 s21, 0x7f800000
	v_mul_lo_u32 v9, v6, s0
	v_mul_f32_e32 v10, 0x3f317217, v7
	v_fma_f32 v10, v7, s20, -v10
	v_fmac_f32_e32 v10, 0x3377d1cf, v7
	v_mul_hi_u32 v6, v6, s0
	v_fmac_f32_e32 v10, 0x3f317217, v7
	v_cmp_lt_f32_e64 s[0:1], |v7|, s21
	v_cndmask_b32_e64 v7, v7, v10, s[0:1]
	v_mov_b32_e32 v10, 0x41b17218
	v_cndmask_b32_e32 v11, 0, v10, vcc
	v_sub_f32_e32 v7, v7, v11
	v_mul_f32_e32 v7, -2.0, v7
	s_mov_b32 s22, 0xf800000
	v_mul_f32_e32 v11, 0x4f800000, v7
	v_cmp_gt_f32_e32 vcc, s22, v7
	v_xor_b32_e32 v6, v8, v6
	v_cndmask_b32_e32 v7, v7, v11, vcc
	v_cvt_f32_u32_e32 v6, v6
	v_sqrt_f32_e32 v11, v7
	v_cvt_f32_u32_e32 v9, v9
	v_mov_b32_e32 v12, 0x2f000000
	v_mov_b32_e32 v8, 0x2f000000
	v_fmac_f32_e32 v12, 0x2f800000, v6
	v_add_u32_e32 v6, -1, v11
	v_fmac_f32_e32 v8, 0x2f800000, v9
	v_fma_f32 v9, -v6, v11, v7
	v_cmp_ge_f32_e64 s[0:1], 0, v9
	v_cndmask_b32_e64 v6, v11, v6, s[0:1]
	v_cmp_gt_f32_e64 s[0:1], s2, v12
	v_cndmask_b32_e64 v13, 0, 32, s[0:1]
	v_add_u32_e32 v9, 1, v11
	v_ldexp_f32 v12, v12, v13
	v_fma_f32 v11, -v9, v11, v7
	v_log_f32_e32 v12, v12
	v_cmp_lt_f32_e64 s[2:3], 0, v11
	v_cndmask_b32_e64 v6, v6, v9, s[2:3]
	v_mul_f32_e32 v9, 0x37800000, v6
	v_cndmask_b32_e32 v6, v6, v9, vcc
	v_mul_f32_e32 v9, 0x3f317217, v12
	v_fma_f32 v9, v12, s20, -v9
	v_fmac_f32_e32 v9, 0x3377d1cf, v12
	v_fmac_f32_e32 v9, 0x3f317217, v12
	v_cmp_lt_f32_e64 vcc, |v12|, s21
	v_cndmask_b32_e32 v9, v12, v9, vcc
	v_cndmask_b32_e64 v10, 0, v10, s[0:1]
	v_sub_f32_e32 v9, v9, v10
	v_mul_f32_e32 v9, -2.0, v9
	v_mul_f32_e32 v10, 0x4f800000, v9
	v_cmp_gt_f32_e32 vcc, s22, v9
	v_cndmask_b32_e32 v9, v9, v10, vcc
	v_sqrt_f32_e32 v10, v9
	v_mov_b32_e32 v11, 0x260
	v_cmp_class_f32_e64 s[0:1], v7, v11
	v_cndmask_b32_e64 v6, v6, v7, s[0:1]
	v_add_u32_e32 v7, -1, v10
	v_fma_f32 v12, -v7, v10, v9
	v_cmp_ge_f32_e64 s[0:1], 0, v12
	v_add_u32_e32 v12, 1, v10
	v_cndmask_b32_e64 v7, v10, v7, s[0:1]
	v_fma_f32 v10, -v12, v10, v9
	v_cmp_lt_f32_e64 s[0:1], 0, v10
	v_cndmask_b32_e64 v7, v7, v12, s[0:1]
	v_mul_f32_e32 v10, 0x37800000, v7
	v_mul_f32_e32 v1, 0x40c90fdb, v1
	;; [unrolled: 1-line block ×3, first 2 shown]
	v_cndmask_b32_e32 v7, v7, v10, vcc
	v_cmp_class_f32_e32 vcc, v9, v11
	v_mul_f32_e32 v1, 0.15915494, v1
	v_mul_f32_e32 v8, 0.15915494, v8
	v_cndmask_b32_e32 v7, v7, v9, vcc
	v_sin_f32_e32 v9, v1
	v_cos_f32_e32 v1, v1
	v_cos_f32_e32 v10, v8
	v_sin_f32_e32 v8, v8
	s_movk_i32 s0, 0x7fff
	v_mul_f32_e32 v1, v1, v6
	v_mul_f32_e32 v6, v9, v6
	;; [unrolled: 1-line block ×4, first 2 shown]
	v_mov_b32_e32 v8, s16
	v_fma_f32 v11, s17, v6, v8
	v_bfe_u32 v6, v11, 16, 1
	v_add3_u32 v6, v11, v6, s0
	v_fma_f32 v9, s17, v9, v8
	v_fma_f32 v1, s17, v1, v8
	v_and_b32_e32 v12, 0xffff0000, v6
	v_bfe_u32 v6, v9, 16, 1
	v_fma_f32 v8, s17, v7, v8
	v_add3_u32 v13, v9, v6, s0
	v_bfe_u32 v6, v8, 16, 1
	v_add3_u32 v14, v8, v6, s0
	v_lshlrev_b64 v[6:7], 3, v[4:5]
	v_mov_b32_e32 v15, s13
	v_add_co_u32_e32 v6, vcc, s12, v6
	v_addc_co_u32_e32 v7, vcc, v15, v7, vcc
	v_and_b32_e32 v14, 0xffff0000, v14
	v_mov_b32_e32 v15, 0x7fc00000
	v_cmp_o_f32_e32 vcc, v8, v8
	v_cndmask_b32_e32 v8, v15, v14, vcc
	v_cmp_o_f32_e32 vcc, v9, v9
	v_mov_b32_e32 v9, 0x7fc0
	v_bfe_u32 v10, v1, 16, 1
	v_cndmask_b32_sdwa v13, v9, v13, vcc dst_sel:DWORD dst_unused:UNUSED_PAD src0_sel:DWORD src1_sel:WORD_1
	v_cmp_o_f32_e32 vcc, v11, v11
	v_add3_u32 v10, v1, v10, s0
	v_cndmask_b32_e32 v11, v15, v12, vcc
	v_cmp_o_f32_e32 vcc, v1, v1
	v_or_b32_e32 v8, v8, v13
	v_cndmask_b32_sdwa v1, v9, v10, vcc dst_sel:DWORD dst_unused:UNUSED_PAD src0_sel:DWORD src1_sel:WORD_1
	v_or3_b32 v9, v8, 0, 0
	v_or3_b32 v8, 0, v11, v1
	global_store_dwordx2 v[6:7], v[8:9], off
.LBB14_2:
	s_or_b64 exec, exec, s[14:15]
	v_cmp_eq_u64_e32 vcc, s[6:7], v[4:5]
	s_and_saveexec_b64 s[0:1], vcc
	s_cbranch_execz .LBB14_6
; %bb.3:
	s_load_dwordx2 s[0:1], s[4:5], 0x4
	s_lshl_b64 s[2:3], s[6:7], 2
	v_mov_b32_e32 v4, 0x2f000000
	s_waitcnt lgkmcnt(0)
	s_lshr_b32 s0, s0, 16
	s_mul_i32 s0, s0, s1
	v_mul_lo_u32 v0, s0, v0
	s_add_u32 s4, s10, s6
	s_addc_u32 s0, s11, s7
	s_mul_i32 s7, s4, 0xd2511f53
	s_mul_hi_u32 s5, s4, 0xd2511f53
	s_xor_b32 s4, s0, s8
	v_mad_u32_u24 v0, v3, s1, v0
	s_xor_b64 s[0:1], s[4:5], s[8:9]
	s_add_i32 s0, s8, 0x9e3779b9
	s_add_i32 s5, s9, 0xbb67ae85
	s_mul_i32 s11, s1, 0xcd9e8d57
	s_mul_hi_u32 s1, s1, 0xcd9e8d57
	s_mul_i32 s10, s4, 0xd2511f53
	s_mul_hi_u32 s4, s4, 0xd2511f53
	s_xor_b32 s0, s0, s1
	s_xor_b32 s1, s7, s5
	s_xor_b32 s1, s1, s4
	s_add_i32 s4, s8, 0x3c6ef372
	s_add_i32 s5, s9, 0x76cf5d0a
	s_mul_i32 s14, s1, 0xcd9e8d57
	s_mul_hi_u32 s1, s1, 0xcd9e8d57
	s_xor_b32 s4, s11, s4
	s_mul_i32 s7, s0, 0xd2511f53
	s_mul_hi_u32 s0, s0, 0xd2511f53
	s_xor_b32 s1, s4, s1
	s_xor_b32 s4, s10, s5
	s_xor_b32 s0, s4, s0
	s_add_i32 s4, s8, 0xdaa66d2b
	s_add_i32 s5, s9, 0x32370b8f
	s_mul_i32 s11, s0, 0xcd9e8d57
	s_mul_hi_u32 s0, s0, 0xcd9e8d57
	s_xor_b32 s4, s14, s4
	s_mul_i32 s10, s1, 0xd2511f53
	s_mul_hi_u32 s1, s1, 0xd2511f53
	s_xor_b32 s0, s4, s0
	s_xor_b32 s4, s7, s5
	s_xor_b32 s1, s4, s1
	s_add_i32 s4, s8, 0x78dde6e4
	s_add_i32 s5, s9, 0xed9eba14
	s_mul_i32 s14, s1, 0xcd9e8d57
	s_mul_hi_u32 s1, s1, 0xcd9e8d57
	s_xor_b32 s4, s11, s4
	s_mul_i32 s7, s0, 0xd2511f53
	s_mul_hi_u32 s0, s0, 0xd2511f53
	s_xor_b32 s1, s4, s1
	s_xor_b32 s4, s10, s5
	s_xor_b32 s0, s4, s0
	s_add_i32 s4, s8, 0x1715609d
	s_add_i32 s5, s9, 0xa9066899
	s_mul_i32 s11, s0, 0xcd9e8d57
	s_mul_hi_u32 s0, s0, 0xcd9e8d57
	s_xor_b32 s4, s14, s4
	s_mul_i32 s10, s1, 0xd2511f53
	s_mul_hi_u32 s1, s1, 0xd2511f53
	s_xor_b32 s0, s4, s0
	s_xor_b32 s4, s7, s5
	s_xor_b32 s1, s4, s1
	s_add_i32 s4, s8, 0xb54cda56
	s_add_i32 s5, s9, 0x646e171e
	s_mul_i32 s14, s1, 0xcd9e8d57
	s_mul_hi_u32 s1, s1, 0xcd9e8d57
	s_xor_b32 s4, s11, s4
	s_mul_i32 s7, s0, 0xd2511f53
	s_mul_hi_u32 s0, s0, 0xd2511f53
	s_xor_b32 s1, s4, s1
	s_xor_b32 s4, s10, s5
	s_xor_b32 s0, s4, s0
	s_add_i32 s4, s8, 0x5384540f
	s_add_i32 s5, s9, 0x1fd5c5a3
	s_mul_i32 s11, s0, 0xcd9e8d57
	s_mul_hi_u32 s0, s0, 0xcd9e8d57
	s_xor_b32 s4, s14, s4
	s_mul_i32 s10, s1, 0xd2511f53
	s_mul_hi_u32 s1, s1, 0xd2511f53
	s_xor_b32 s0, s4, s0
	s_xor_b32 s4, s7, s5
	;; [unrolled: 1-line block ×3, first 2 shown]
	s_add_i32 s4, s8, 0xf1bbcdc8
	s_add_i32 s6, s8, 0x8ff34781
	;; [unrolled: 1-line block ×3, first 2 shown]
	s_mul_i32 s8, s1, 0xcd9e8d57
	s_mul_hi_u32 s1, s1, 0xcd9e8d57
	s_xor_b32 s4, s11, s4
	s_mul_i32 s7, s0, 0xd2511f53
	s_mul_hi_u32 s0, s0, 0xd2511f53
	s_xor_b32 s1, s4, s1
	s_xor_b32 s4, s10, s5
	;; [unrolled: 1-line block ×3, first 2 shown]
	s_add_i32 s4, s9, 0x96a522ad
	s_mul_i32 s9, s0, 0xcd9e8d57
	s_mul_hi_u32 s0, s0, 0xcd9e8d57
	s_xor_b32 s6, s8, s6
	s_xor_b32 s0, s6, s0
	v_cvt_f32_u32_e32 v1, s0
	s_mul_i32 s5, s1, 0xd2511f53
	s_mul_hi_u32 s1, s1, 0xd2511f53
	s_xor_b32 s4, s7, s4
	v_fmac_f32_e32 v4, 0x2f800000, v1
	s_mov_b32 s6, 0x800000
	s_xor_b32 s4, s4, s1
	v_cmp_gt_f32_e32 vcc, s6, v4
	s_and_b64 s[0:1], vcc, exec
	s_cselect_b32 s0, 32, 0
	v_ldexp_f32 v4, v4, s0
	v_log_f32_e32 v4, v4
	v_cvt_f32_u32_e32 v3, s9
	v_cvt_f32_u32_e32 v6, s4
	s_mov_b32 s4, 0x3f317217
	v_mul_f32_e32 v8, 0x3f317217, v4
	v_mov_b32_e32 v1, 0x2f000000
	v_fma_f32 v8, v4, s4, -v8
	v_fmac_f32_e32 v1, 0x2f800000, v3
	v_mov_b32_e32 v3, 0x41b17218
	v_cvt_f32_u32_e32 v7, s5
	v_fmac_f32_e32 v8, 0x3377d1cf, v4
	s_mov_b32 s5, 0x7f800000
	v_cndmask_b32_e32 v5, 0, v3, vcc
	v_fmac_f32_e32 v8, 0x3f317217, v4
	v_cmp_lt_f32_e64 vcc, |v4|, s5
	v_cndmask_b32_e32 v4, v4, v8, vcc
	v_sub_f32_e32 v4, v4, v5
	v_mul_f32_e32 v4, -2.0, v4
	s_mov_b32 s7, 0xf800000
	v_mul_f32_e32 v5, 0x4f800000, v4
	v_cmp_gt_f32_e32 vcc, s7, v4
	v_cndmask_b32_e32 v4, v4, v5, vcc
	v_sqrt_f32_e32 v5, v4
	v_mov_b32_e32 v8, 0x2f000000
	v_add_lshl_u32 v0, v0, v2, 4
	v_mov_b32_e32 v2, 0x2f000000
	v_fmac_f32_e32 v8, 0x2f800000, v6
	v_add_u32_e32 v6, -1, v5
	v_fmac_f32_e32 v2, 0x2f800000, v7
	v_fma_f32 v7, -v6, v5, v4
	v_cmp_ge_f32_e64 s[0:1], 0, v7
	v_cndmask_b32_e64 v6, v5, v6, s[0:1]
	v_cmp_gt_f32_e64 s[0:1], s6, v8
	v_cndmask_b32_e64 v3, 0, v3, s[0:1]
	s_and_b64 s[0:1], s[0:1], exec
	s_cselect_b32 s0, 32, 0
	v_add_u32_e32 v7, 1, v5
	v_ldexp_f32 v8, v8, s0
	v_fma_f32 v5, -v7, v5, v4
	v_log_f32_e32 v8, v8
	v_cmp_lt_f32_e64 s[0:1], 0, v5
	v_cndmask_b32_e64 v5, v6, v7, s[0:1]
	v_mul_f32_e32 v6, 0x37800000, v5
	v_cndmask_b32_e32 v5, v5, v6, vcc
	v_mul_f32_e32 v6, 0x3f317217, v8
	v_fma_f32 v6, v8, s4, -v6
	v_fmac_f32_e32 v6, 0x3377d1cf, v8
	v_fmac_f32_e32 v6, 0x3f317217, v8
	v_cmp_lt_f32_e64 vcc, |v8|, s5
	v_cndmask_b32_e32 v6, v8, v6, vcc
	v_sub_f32_e32 v3, v6, v3
	v_mul_f32_e32 v3, -2.0, v3
	v_mul_f32_e32 v6, 0x4f800000, v3
	v_cmp_gt_f32_e32 vcc, s7, v3
	v_cndmask_b32_e32 v3, v3, v6, vcc
	v_sqrt_f32_e32 v6, v3
	v_mov_b32_e32 v7, 0x260
	v_cmp_class_f32_e64 s[0:1], v4, v7
	v_cndmask_b32_e64 v4, v5, v4, s[0:1]
	v_add_u32_e32 v5, -1, v6
	v_fma_f32 v8, -v5, v6, v3
	v_cmp_ge_f32_e64 s[0:1], 0, v8
	v_add_u32_e32 v8, 1, v6
	v_cndmask_b32_e64 v5, v6, v5, s[0:1]
	v_fma_f32 v6, -v8, v6, v3
	v_cmp_lt_f32_e64 s[0:1], 0, v6
	v_cndmask_b32_e64 v5, v5, v8, s[0:1]
	v_mul_f32_e32 v6, 0x37800000, v5
	v_mul_f32_e32 v1, 0x40c90fdb, v1
	;; [unrolled: 1-line block ×3, first 2 shown]
	v_cndmask_b32_e32 v5, v5, v6, vcc
	v_cmp_class_f32_e32 vcc, v3, v7
	v_mul_f32_e32 v1, 0.15915494, v1
	v_mul_f32_e32 v2, 0.15915494, v2
	v_cndmask_b32_e32 v5, v5, v3, vcc
	v_sin_f32_e32 v3, v1
	v_cos_f32_e32 v1, v1
	v_cos_f32_e32 v6, v2
	v_sin_f32_e32 v7, v2
	s_sub_u32 s4, s18, s2
	s_subb_u32 s5, s19, s3
	v_cmp_lt_i64_e64 s[0:1], s[4:5], 1
	v_mul_f32_e32 v1, v1, v4
	v_mul_f32_e32 v2, v3, v4
	;; [unrolled: 1-line block ×4, first 2 shown]
	s_and_b64 vcc, exec, s[0:1]
	ds_write_b128 v0, v[1:4]
	s_cbranch_vccnz .LBB14_6
; %bb.4:
	s_lshl_b64 s[0:1], s[2:3], 1
	s_add_u32 s2, s12, s0
	s_addc_u32 s3, s13, s1
	s_mov_b64 s[6:7], 0
	v_mov_b32_e32 v1, s16
	s_movk_i32 s8, 0x7fff
	v_mov_b32_e32 v2, 0x7fc0
	v_mov_b32_e32 v3, 0
.LBB14_5:                               ; =>This Inner Loop Header: Depth=1
	ds_read_b32 v6, v0
	s_add_u32 s6, s6, 1
	s_addc_u32 s7, s7, 0
	v_mov_b32_e32 v4, s6
	v_mov_b32_e32 v5, s7
	v_cmp_gt_i64_e64 s[0:1], s[4:5], v[4:5]
	s_waitcnt lgkmcnt(0)
	v_fma_f32 v4, s17, v6, v1
	v_bfe_u32 v5, v4, 16, 1
	v_cmp_o_f32_e32 vcc, v4, v4
	v_add3_u32 v4, v4, v5, s8
	v_cndmask_b32_sdwa v4, v2, v4, vcc dst_sel:DWORD dst_unused:UNUSED_PAD src0_sel:DWORD src1_sel:WORD_1
	global_store_short v3, v4, s[2:3]
	s_add_u32 s2, s2, 2
	v_add_u32_e32 v0, 4, v0
	s_addc_u32 s3, s3, 0
	s_and_b64 vcc, exec, s[0:1]
	s_cbranch_vccnz .LBB14_5
.LBB14_6:
	s_endpgm
	.section	.rodata,"a",@progbits
	.p2align	6, 0x0
	.amdhsa_kernel _ZN2at6native12_GLOBAL__N_124philox_single_key_kernelIN3c108BFloat16EZZZZNS0_20_philox_normal_cuda_ERNS_6TensorERKS5_ddENKUlvE_clEvENKUlvE2_clEvENKUlvE_clEvEUlmmE0_ZZZNS0_20_philox_normal_cuda_ES6_S8_ddENKS9_clEvENKSA_clEvEUlfE_EEvPT_PKmlT0_T1_
		.amdhsa_group_segment_fixed_size 16384
		.amdhsa_private_segment_fixed_size 0
		.amdhsa_kernarg_size 296
		.amdhsa_user_sgpr_count 8
		.amdhsa_user_sgpr_private_segment_buffer 1
		.amdhsa_user_sgpr_dispatch_ptr 1
		.amdhsa_user_sgpr_queue_ptr 0
		.amdhsa_user_sgpr_kernarg_segment_ptr 1
		.amdhsa_user_sgpr_dispatch_id 0
		.amdhsa_user_sgpr_flat_scratch_init 0
		.amdhsa_user_sgpr_private_segment_size 0
		.amdhsa_uses_dynamic_stack 0
		.amdhsa_system_sgpr_private_segment_wavefront_offset 0
		.amdhsa_system_sgpr_workgroup_id_x 1
		.amdhsa_system_sgpr_workgroup_id_y 0
		.amdhsa_system_sgpr_workgroup_id_z 0
		.amdhsa_system_sgpr_workgroup_info 0
		.amdhsa_system_vgpr_workitem_id 2
		.amdhsa_next_free_vgpr 16
		.amdhsa_next_free_sgpr 23
		.amdhsa_reserve_vcc 1
		.amdhsa_reserve_flat_scratch 0
		.amdhsa_float_round_mode_32 0
		.amdhsa_float_round_mode_16_64 0
		.amdhsa_float_denorm_mode_32 3
		.amdhsa_float_denorm_mode_16_64 3
		.amdhsa_dx10_clamp 1
		.amdhsa_ieee_mode 1
		.amdhsa_fp16_overflow 0
		.amdhsa_exception_fp_ieee_invalid_op 0
		.amdhsa_exception_fp_denorm_src 0
		.amdhsa_exception_fp_ieee_div_zero 0
		.amdhsa_exception_fp_ieee_overflow 0
		.amdhsa_exception_fp_ieee_underflow 0
		.amdhsa_exception_fp_ieee_inexact 0
		.amdhsa_exception_int_div_zero 0
	.end_amdhsa_kernel
	.section	.text._ZN2at6native12_GLOBAL__N_124philox_single_key_kernelIN3c108BFloat16EZZZZNS0_20_philox_normal_cuda_ERNS_6TensorERKS5_ddENKUlvE_clEvENKUlvE2_clEvENKUlvE_clEvEUlmmE0_ZZZNS0_20_philox_normal_cuda_ES6_S8_ddENKS9_clEvENKSA_clEvEUlfE_EEvPT_PKmlT0_T1_,"axG",@progbits,_ZN2at6native12_GLOBAL__N_124philox_single_key_kernelIN3c108BFloat16EZZZZNS0_20_philox_normal_cuda_ERNS_6TensorERKS5_ddENKUlvE_clEvENKUlvE2_clEvENKUlvE_clEvEUlmmE0_ZZZNS0_20_philox_normal_cuda_ES6_S8_ddENKS9_clEvENKSA_clEvEUlfE_EEvPT_PKmlT0_T1_,comdat
.Lfunc_end14:
	.size	_ZN2at6native12_GLOBAL__N_124philox_single_key_kernelIN3c108BFloat16EZZZZNS0_20_philox_normal_cuda_ERNS_6TensorERKS5_ddENKUlvE_clEvENKUlvE2_clEvENKUlvE_clEvEUlmmE0_ZZZNS0_20_philox_normal_cuda_ES6_S8_ddENKS9_clEvENKSA_clEvEUlfE_EEvPT_PKmlT0_T1_, .Lfunc_end14-_ZN2at6native12_GLOBAL__N_124philox_single_key_kernelIN3c108BFloat16EZZZZNS0_20_philox_normal_cuda_ERNS_6TensorERKS5_ddENKUlvE_clEvENKUlvE2_clEvENKUlvE_clEvEUlmmE0_ZZZNS0_20_philox_normal_cuda_ES6_S8_ddENKS9_clEvENKSA_clEvEUlfE_EEvPT_PKmlT0_T1_
                                        ; -- End function
	.set _ZN2at6native12_GLOBAL__N_124philox_single_key_kernelIN3c108BFloat16EZZZZNS0_20_philox_normal_cuda_ERNS_6TensorERKS5_ddENKUlvE_clEvENKUlvE2_clEvENKUlvE_clEvEUlmmE0_ZZZNS0_20_philox_normal_cuda_ES6_S8_ddENKS9_clEvENKSA_clEvEUlfE_EEvPT_PKmlT0_T1_.num_vgpr, 16
	.set _ZN2at6native12_GLOBAL__N_124philox_single_key_kernelIN3c108BFloat16EZZZZNS0_20_philox_normal_cuda_ERNS_6TensorERKS5_ddENKUlvE_clEvENKUlvE2_clEvENKUlvE_clEvEUlmmE0_ZZZNS0_20_philox_normal_cuda_ES6_S8_ddENKS9_clEvENKSA_clEvEUlfE_EEvPT_PKmlT0_T1_.num_agpr, 0
	.set _ZN2at6native12_GLOBAL__N_124philox_single_key_kernelIN3c108BFloat16EZZZZNS0_20_philox_normal_cuda_ERNS_6TensorERKS5_ddENKUlvE_clEvENKUlvE2_clEvENKUlvE_clEvEUlmmE0_ZZZNS0_20_philox_normal_cuda_ES6_S8_ddENKS9_clEvENKSA_clEvEUlfE_EEvPT_PKmlT0_T1_.numbered_sgpr, 23
	.set _ZN2at6native12_GLOBAL__N_124philox_single_key_kernelIN3c108BFloat16EZZZZNS0_20_philox_normal_cuda_ERNS_6TensorERKS5_ddENKUlvE_clEvENKUlvE2_clEvENKUlvE_clEvEUlmmE0_ZZZNS0_20_philox_normal_cuda_ES6_S8_ddENKS9_clEvENKSA_clEvEUlfE_EEvPT_PKmlT0_T1_.num_named_barrier, 0
	.set _ZN2at6native12_GLOBAL__N_124philox_single_key_kernelIN3c108BFloat16EZZZZNS0_20_philox_normal_cuda_ERNS_6TensorERKS5_ddENKUlvE_clEvENKUlvE2_clEvENKUlvE_clEvEUlmmE0_ZZZNS0_20_philox_normal_cuda_ES6_S8_ddENKS9_clEvENKSA_clEvEUlfE_EEvPT_PKmlT0_T1_.private_seg_size, 0
	.set _ZN2at6native12_GLOBAL__N_124philox_single_key_kernelIN3c108BFloat16EZZZZNS0_20_philox_normal_cuda_ERNS_6TensorERKS5_ddENKUlvE_clEvENKUlvE2_clEvENKUlvE_clEvEUlmmE0_ZZZNS0_20_philox_normal_cuda_ES6_S8_ddENKS9_clEvENKSA_clEvEUlfE_EEvPT_PKmlT0_T1_.uses_vcc, 1
	.set _ZN2at6native12_GLOBAL__N_124philox_single_key_kernelIN3c108BFloat16EZZZZNS0_20_philox_normal_cuda_ERNS_6TensorERKS5_ddENKUlvE_clEvENKUlvE2_clEvENKUlvE_clEvEUlmmE0_ZZZNS0_20_philox_normal_cuda_ES6_S8_ddENKS9_clEvENKSA_clEvEUlfE_EEvPT_PKmlT0_T1_.uses_flat_scratch, 0
	.set _ZN2at6native12_GLOBAL__N_124philox_single_key_kernelIN3c108BFloat16EZZZZNS0_20_philox_normal_cuda_ERNS_6TensorERKS5_ddENKUlvE_clEvENKUlvE2_clEvENKUlvE_clEvEUlmmE0_ZZZNS0_20_philox_normal_cuda_ES6_S8_ddENKS9_clEvENKSA_clEvEUlfE_EEvPT_PKmlT0_T1_.has_dyn_sized_stack, 0
	.set _ZN2at6native12_GLOBAL__N_124philox_single_key_kernelIN3c108BFloat16EZZZZNS0_20_philox_normal_cuda_ERNS_6TensorERKS5_ddENKUlvE_clEvENKUlvE2_clEvENKUlvE_clEvEUlmmE0_ZZZNS0_20_philox_normal_cuda_ES6_S8_ddENKS9_clEvENKSA_clEvEUlfE_EEvPT_PKmlT0_T1_.has_recursion, 0
	.set _ZN2at6native12_GLOBAL__N_124philox_single_key_kernelIN3c108BFloat16EZZZZNS0_20_philox_normal_cuda_ERNS_6TensorERKS5_ddENKUlvE_clEvENKUlvE2_clEvENKUlvE_clEvEUlmmE0_ZZZNS0_20_philox_normal_cuda_ES6_S8_ddENKS9_clEvENKSA_clEvEUlfE_EEvPT_PKmlT0_T1_.has_indirect_call, 0
	.section	.AMDGPU.csdata,"",@progbits
; Kernel info:
; codeLenInByte = 2904
; TotalNumSgprs: 27
; NumVgprs: 16
; ScratchSize: 0
; MemoryBound: 0
; FloatMode: 240
; IeeeMode: 1
; LDSByteSize: 16384 bytes/workgroup (compile time only)
; SGPRBlocks: 3
; VGPRBlocks: 3
; NumSGPRsForWavesPerEU: 27
; NumVGPRsForWavesPerEU: 16
; Occupancy: 8
; WaveLimiterHint : 0
; COMPUTE_PGM_RSRC2:SCRATCH_EN: 0
; COMPUTE_PGM_RSRC2:USER_SGPR: 8
; COMPUTE_PGM_RSRC2:TRAP_HANDLER: 0
; COMPUTE_PGM_RSRC2:TGID_X_EN: 1
; COMPUTE_PGM_RSRC2:TGID_Y_EN: 0
; COMPUTE_PGM_RSRC2:TGID_Z_EN: 0
; COMPUTE_PGM_RSRC2:TIDIG_COMP_CNT: 2
	.section	.text._ZN2at6native12_GLOBAL__N_123philox_multi_key_kernelIN3c108BFloat16EZZZZNS0_20_philox_normal_cuda_ERNS_6TensorERKS5_ddENKUlvE_clEvENKUlvE2_clEvENKUlvE_clEvEUlmmE0_ZZZNS0_20_philox_normal_cuda_ES6_S8_ddENKS9_clEvENKSA_clEvEUlfE_EEvPT_PKmllT0_T1_16OffsetCalculatorILi1EjLb0EE,"axG",@progbits,_ZN2at6native12_GLOBAL__N_123philox_multi_key_kernelIN3c108BFloat16EZZZZNS0_20_philox_normal_cuda_ERNS_6TensorERKS5_ddENKUlvE_clEvENKUlvE2_clEvENKUlvE_clEvEUlmmE0_ZZZNS0_20_philox_normal_cuda_ES6_S8_ddENKS9_clEvENKSA_clEvEUlfE_EEvPT_PKmllT0_T1_16OffsetCalculatorILi1EjLb0EE,comdat
	.globl	_ZN2at6native12_GLOBAL__N_123philox_multi_key_kernelIN3c108BFloat16EZZZZNS0_20_philox_normal_cuda_ERNS_6TensorERKS5_ddENKUlvE_clEvENKUlvE2_clEvENKUlvE_clEvEUlmmE0_ZZZNS0_20_philox_normal_cuda_ES6_S8_ddENKS9_clEvENKSA_clEvEUlfE_EEvPT_PKmllT0_T1_16OffsetCalculatorILi1EjLb0EE ; -- Begin function _ZN2at6native12_GLOBAL__N_123philox_multi_key_kernelIN3c108BFloat16EZZZZNS0_20_philox_normal_cuda_ERNS_6TensorERKS5_ddENKUlvE_clEvENKUlvE2_clEvENKUlvE_clEvEUlmmE0_ZZZNS0_20_philox_normal_cuda_ES6_S8_ddENKS9_clEvENKSA_clEvEUlfE_EEvPT_PKmllT0_T1_16OffsetCalculatorILi1EjLb0EE
	.p2align	8
	.type	_ZN2at6native12_GLOBAL__N_123philox_multi_key_kernelIN3c108BFloat16EZZZZNS0_20_philox_normal_cuda_ERNS_6TensorERKS5_ddENKUlvE_clEvENKUlvE2_clEvENKUlvE_clEvEUlmmE0_ZZZNS0_20_philox_normal_cuda_ES6_S8_ddENKS9_clEvENKSA_clEvEUlfE_EEvPT_PKmllT0_T1_16OffsetCalculatorILi1EjLb0EE,@function
_ZN2at6native12_GLOBAL__N_123philox_multi_key_kernelIN3c108BFloat16EZZZZNS0_20_philox_normal_cuda_ERNS_6TensorERKS5_ddENKUlvE_clEvENKUlvE2_clEvENKUlvE_clEvEUlmmE0_ZZZNS0_20_philox_normal_cuda_ES6_S8_ddENKS9_clEvENKSA_clEvEUlfE_EEvPT_PKmllT0_T1_16OffsetCalculatorILi1EjLb0EE: ; @_ZN2at6native12_GLOBAL__N_123philox_multi_key_kernelIN3c108BFloat16EZZZZNS0_20_philox_normal_cuda_ERNS_6TensorERKS5_ddENKUlvE_clEvENKUlvE2_clEvENKUlvE_clEvEUlmmE0_ZZZNS0_20_philox_normal_cuda_ES6_S8_ddENKS9_clEvENKSA_clEvEUlfE_EEvPT_PKmllT0_T1_16OffsetCalculatorILi1EjLb0EE
; %bb.0:
	s_load_dwordx4 s[16:19], s[4:5], 0x10
	s_load_dword s2, s[4:5], 0x13c
	v_mov_b32_e32 v4, 0
	v_mov_b32_e32 v1, v4
	;; [unrolled: 1-line block ×3, first 2 shown]
	s_waitcnt lgkmcnt(0)
	s_add_u32 s0, s18, 3
	s_addc_u32 s1, s19, 0
	s_ashr_i32 s3, s1, 31
	s_lshr_b32 s3, s3, 30
	s_add_u32 s0, s0, s3
	s_addc_u32 s1, s1, 0
	s_ashr_i64 s[24:25], s[0:1], 2
	s_mul_i32 s0, s24, s17
	s_mul_hi_u32 s1, s24, s16
	s_add_i32 s3, s1, s0
	s_and_b32 s0, s2, 0xffff
	v_mad_u64_u32 v[2:3], s[0:1], s0, v2, v[0:1]
	s_mul_i32 s0, s25, s16
	s_add_i32 s1, s3, s0
	s_mul_i32 s0, s24, s16
	v_cmp_gt_i64_e32 vcc, s[0:1], v[2:3]
	s_and_saveexec_b64 s[0:1], vcc
	s_cbranch_execz .LBB15_28
; %bb.1:
	v_or_b32_e32 v5, s25, v3
	v_cmp_ne_u64_e32 vcc, 0, v[4:5]
                                        ; implicit-def: $vgpr0_vgpr1
	s_and_saveexec_b64 s[0:1], vcc
	s_xor_b64 s[2:3], exec, s[0:1]
	s_cbranch_execz .LBB15_3
; %bb.2:
	s_ashr_i32 s6, s25, 31
	s_add_u32 s0, s24, s6
	s_mov_b32 s7, s6
	s_addc_u32 s1, s25, s6
	s_xor_b64 s[8:9], s[0:1], s[6:7]
	v_cvt_f32_u32_e32 v0, s8
	v_cvt_f32_u32_e32 v1, s9
	s_sub_u32 s7, 0, s8
	s_subb_u32 s10, 0, s9
	v_ashrrev_i32_e32 v6, 31, v3
	v_madmk_f32 v0, v1, 0x4f800000, v0
	v_rcp_f32_e32 v0, v0
	v_mul_f32_e32 v0, 0x5f7ffffc, v0
	v_mul_f32_e32 v1, 0x2f800000, v0
	v_trunc_f32_e32 v1, v1
	v_madmk_f32 v0, v1, 0xcf800000, v0
	v_cvt_u32_f32_e32 v1, v1
	v_cvt_u32_f32_e32 v0, v0
	v_readfirstlane_b32 s11, v1
	v_readfirstlane_b32 s0, v0
	s_mul_i32 s1, s7, s11
	s_mul_hi_u32 s13, s7, s0
	s_mul_i32 s12, s10, s0
	s_add_i32 s1, s13, s1
	s_add_i32 s1, s1, s12
	s_mul_i32 s14, s7, s0
	s_mul_i32 s13, s0, s1
	s_mul_hi_u32 s15, s0, s14
	s_mul_hi_u32 s12, s0, s1
	s_add_u32 s13, s15, s13
	s_addc_u32 s12, 0, s12
	s_mul_hi_u32 s16, s11, s14
	s_mul_i32 s14, s11, s14
	s_add_u32 s13, s13, s14
	s_mul_hi_u32 s15, s11, s1
	s_addc_u32 s12, s12, s16
	s_addc_u32 s13, s15, 0
	s_mul_i32 s1, s11, s1
	s_add_u32 s1, s12, s1
	s_addc_u32 s12, 0, s13
	s_add_u32 s13, s0, s1
	s_cselect_b64 s[0:1], -1, 0
	s_cmp_lg_u64 s[0:1], 0
	s_addc_u32 s11, s11, s12
	s_mul_i32 s0, s7, s11
	s_mul_hi_u32 s1, s7, s13
	s_add_i32 s0, s1, s0
	s_mul_i32 s10, s10, s13
	s_add_i32 s0, s0, s10
	s_mul_i32 s7, s7, s13
	s_mul_hi_u32 s10, s11, s7
	s_mul_i32 s12, s11, s7
	s_mul_i32 s15, s13, s0
	s_mul_hi_u32 s7, s13, s7
	s_mul_hi_u32 s14, s13, s0
	s_add_u32 s7, s7, s15
	s_addc_u32 s14, 0, s14
	s_add_u32 s7, s7, s12
	s_mul_hi_u32 s1, s11, s0
	s_addc_u32 s7, s14, s10
	s_addc_u32 s1, s1, 0
	s_mul_i32 s0, s11, s0
	s_add_u32 s0, s7, s0
	s_addc_u32 s7, 0, s1
	s_add_u32 s10, s13, s0
	s_cselect_b64 s[0:1], -1, 0
	s_cmp_lg_u64 s[0:1], 0
	v_add_co_u32_e32 v0, vcc, v2, v6
	s_addc_u32 s7, s11, s7
	v_xor_b32_e32 v7, v0, v6
	v_mad_u64_u32 v[0:1], s[0:1], v7, s7, 0
	v_mul_hi_u32 v5, v7, s10
	v_addc_co_u32_e32 v4, vcc, v3, v6, vcc
	v_xor_b32_e32 v8, v4, v6
	v_add_co_u32_e32 v9, vcc, v5, v0
	v_addc_co_u32_e32 v10, vcc, 0, v1, vcc
	v_mad_u64_u32 v[0:1], s[0:1], v8, s10, 0
	v_mad_u64_u32 v[4:5], s[0:1], v8, s7, 0
	v_add_co_u32_e32 v0, vcc, v9, v0
	v_addc_co_u32_e32 v0, vcc, v10, v1, vcc
	v_addc_co_u32_e32 v1, vcc, 0, v5, vcc
	v_add_co_u32_e32 v4, vcc, v0, v4
	v_addc_co_u32_e32 v5, vcc, 0, v1, vcc
	v_mul_lo_u32 v9, s9, v4
	v_mul_lo_u32 v10, s8, v5
	v_mad_u64_u32 v[0:1], s[0:1], s8, v4, 0
	v_add3_u32 v1, v1, v10, v9
	v_sub_u32_e32 v9, v8, v1
	v_mov_b32_e32 v10, s9
	v_sub_co_u32_e32 v0, vcc, v7, v0
	v_subb_co_u32_e64 v7, s[0:1], v9, v10, vcc
	v_subrev_co_u32_e64 v9, s[0:1], s8, v0
	v_subbrev_co_u32_e64 v7, s[0:1], 0, v7, s[0:1]
	v_cmp_le_u32_e64 s[0:1], s9, v7
	v_cndmask_b32_e64 v10, 0, -1, s[0:1]
	v_cmp_le_u32_e64 s[0:1], s8, v9
	v_cndmask_b32_e64 v9, 0, -1, s[0:1]
	v_cmp_eq_u32_e64 s[0:1], s9, v7
	v_cndmask_b32_e64 v7, v10, v9, s[0:1]
	v_add_co_u32_e64 v9, s[0:1], 2, v4
	v_subb_co_u32_e32 v1, vcc, v8, v1, vcc
	v_addc_co_u32_e64 v10, s[0:1], 0, v5, s[0:1]
	v_cmp_le_u32_e32 vcc, s9, v1
	v_add_co_u32_e64 v11, s[0:1], 1, v4
	v_cndmask_b32_e64 v8, 0, -1, vcc
	v_cmp_le_u32_e32 vcc, s8, v0
	v_addc_co_u32_e64 v12, s[0:1], 0, v5, s[0:1]
	v_cndmask_b32_e64 v0, 0, -1, vcc
	v_cmp_eq_u32_e32 vcc, s9, v1
	v_cmp_ne_u32_e64 s[0:1], 0, v7
	v_cndmask_b32_e32 v0, v8, v0, vcc
	v_cndmask_b32_e64 v7, v12, v10, s[0:1]
	v_cmp_ne_u32_e32 vcc, 0, v0
	v_cndmask_b32_e64 v1, v11, v9, s[0:1]
	v_cndmask_b32_e32 v0, v5, v7, vcc
	v_cndmask_b32_e32 v1, v4, v1, vcc
	v_xor_b32_e32 v4, s6, v6
	v_xor_b32_e32 v5, v0, v4
	;; [unrolled: 1-line block ×3, first 2 shown]
	v_sub_co_u32_e32 v0, vcc, v0, v4
	v_subb_co_u32_e32 v1, vcc, v5, v4, vcc
.LBB15_3:
	s_andn2_saveexec_b64 s[0:1], s[2:3]
	s_cbranch_execz .LBB15_5
; %bb.4:
	v_cvt_f32_u32_e32 v0, s24
	s_sub_i32 s2, 0, s24
	v_rcp_iflag_f32_e32 v0, v0
	v_mul_f32_e32 v0, 0x4f7ffffe, v0
	v_cvt_u32_f32_e32 v0, v0
	v_mul_lo_u32 v1, s2, v0
	v_mul_hi_u32 v1, v0, v1
	v_add_u32_e32 v0, v0, v1
	v_mul_hi_u32 v0, v2, v0
	v_mul_lo_u32 v1, v0, s24
	v_add_u32_e32 v4, 1, v0
	v_sub_u32_e32 v1, v2, v1
	v_subrev_u32_e32 v5, s24, v1
	v_cmp_le_u32_e32 vcc, s24, v1
	v_cndmask_b32_e32 v1, v1, v5, vcc
	v_cndmask_b32_e32 v0, v0, v4, vcc
	v_add_u32_e32 v4, 1, v0
	v_cmp_le_u32_e32 vcc, s24, v1
	v_cndmask_b32_e32 v0, v0, v4, vcc
	v_mov_b32_e32 v1, 0
.LBB15_5:
	s_or_b64 exec, exec, s[0:1]
	s_load_dword s33, s[4:5], 0x2c
	s_load_dwordx2 s[16:17], s[4:5], 0x8
	s_load_dwordx2 s[6:7], s[4:5], 0x24
	s_add_u32 s26, s4, 44
	s_addc_u32 s27, s5, 0
	s_waitcnt lgkmcnt(0)
	s_add_i32 s0, s33, -1
	s_cmp_lt_u32 s0, 2
	s_cbranch_scc1 .LBB15_11
; %bb.6:
	s_cmp_lg_u32 s33, 0
	s_mov_b32 s34, 0
	s_cbranch_scc0 .LBB15_12
; %bb.7:
	s_min_u32 s35, s0, 15
	s_add_i32 s35, s35, 1
	s_cmp_eq_u32 s0, 2
	s_cbranch_scc1 .LBB15_13
; %bb.8:
	s_and_b32 s34, s35, 28
	s_add_u32 s28, s26, 0xc4
	s_addc_u32 s29, s27, 0
	s_mov_b32 s36, 0
	v_mov_b32_e32 v4, 0
	s_mov_b64 s[30:31], s[26:27]
	v_mov_b32_e32 v5, v0
.LBB15_9:                               ; =>This Inner Loop Header: Depth=1
	s_load_dwordx8 s[8:15], s[30:31], 0x4
	s_load_dwordx4 s[0:3], s[30:31], 0x24
	s_load_dwordx4 s[20:23], s[28:29], 0x0
	s_add_u32 s30, s30, 48
	s_addc_u32 s31, s31, 0
	s_waitcnt lgkmcnt(0)
	v_mul_hi_u32 v6, s9, v5
	s_add_i32 s36, s36, 4
	s_add_u32 s28, s28, 16
	s_addc_u32 s29, s29, 0
	v_add_u32_e32 v6, v5, v6
	v_lshrrev_b32_e32 v6, s10, v6
	v_mul_lo_u32 v7, v6, s8
	v_mul_hi_u32 v8, s12, v6
	s_cmp_lg_u32 s34, s36
	v_sub_u32_e32 v5, v5, v7
	v_add_u32_e32 v7, v6, v8
	v_lshrrev_b32_e32 v7, s13, v7
	v_mul_lo_u32 v8, v5, s20
	v_mul_hi_u32 v5, s15, v7
	v_mul_lo_u32 v10, v7, s11
	v_add_u32_e32 v5, v7, v5
	v_lshrrev_b32_e32 v9, s0, v5
	v_mul_hi_u32 v5, s2, v9
	v_sub_u32_e32 v6, v6, v10
	v_mul_lo_u32 v10, v9, s14
	v_mul_lo_u32 v6, v6, s21
	v_add_u32_e32 v5, v9, v5
	v_lshrrev_b32_e32 v5, s3, v5
	v_mul_lo_u32 v11, v5, s1
	v_sub_u32_e32 v7, v7, v10
	v_mul_lo_u32 v7, v7, s22
	v_add3_u32 v4, v8, v4, v6
	v_sub_u32_e32 v9, v9, v11
	v_mul_lo_u32 v9, v9, s23
	v_add3_u32 v4, v7, v4, v9
	s_cbranch_scc1 .LBB15_9
; %bb.10:
	s_and_b32 s8, s35, 3
	s_cmp_eq_u32 s8, 0
	s_cbranch_scc0 .LBB15_14
	s_branch .LBB15_16
.LBB15_11:
                                        ; implicit-def: $vgpr4
	s_load_dwordx2 s[4:5], s[4:5], 0x0
	s_branch .LBB15_17
.LBB15_12:
	v_mov_b32_e32 v4, 0
	s_branch .LBB15_16
.LBB15_13:
	v_mov_b32_e32 v4, 0
	v_mov_b32_e32 v5, v0
	s_and_b32 s8, s35, 3
	s_cmp_eq_u32 s8, 0
	s_cbranch_scc1 .LBB15_16
.LBB15_14:
	s_lshl_b32 s0, s34, 2
	s_add_u32 s0, s26, s0
	s_addc_u32 s1, s27, 0
	s_add_u32 s0, s0, 0xc4
	s_addc_u32 s1, s1, 0
	s_mul_i32 s2, s34, 12
	s_add_u32 s2, s26, s2
	s_addc_u32 s3, s27, 0
.LBB15_15:                              ; =>This Inner Loop Header: Depth=1
	s_load_dwordx2 s[10:11], s[2:3], 0x4
	s_load_dword s9, s[2:3], 0xc
	s_add_u32 s2, s2, 12
	s_addc_u32 s3, s3, 0
	s_waitcnt lgkmcnt(0)
	v_mul_hi_u32 v6, s11, v5
	s_load_dword s11, s[0:1], 0x0
	s_add_u32 s0, s0, 4
	s_addc_u32 s1, s1, 0
	v_add_u32_e32 v6, v5, v6
	v_lshrrev_b32_e32 v6, s9, v6
	v_mul_lo_u32 v7, v6, s10
	s_add_i32 s8, s8, -1
	s_cmp_lg_u32 s8, 0
	v_sub_u32_e32 v5, v5, v7
	s_waitcnt lgkmcnt(0)
	v_mad_u64_u32 v[4:5], s[10:11], v5, s11, v[4:5]
	v_mov_b32_e32 v5, v6
	s_cbranch_scc1 .LBB15_15
.LBB15_16:
	s_load_dwordx2 s[4:5], s[4:5], 0x0
	s_cbranch_execnz .LBB15_19
.LBB15_17:
	s_load_dwordx4 s[0:3], s[26:27], 0x4
	s_waitcnt lgkmcnt(0)
	s_load_dword s3, s[26:27], 0xc4
	s_cmp_lt_u32 s33, 2
	v_mul_hi_u32 v4, v0, s1
	v_add_u32_e32 v4, v4, v0
	v_lshrrev_b32_e32 v5, s2, v4
	v_mul_lo_u32 v4, v5, s0
	v_sub_u32_e32 v4, v0, v4
	s_waitcnt lgkmcnt(0)
	v_mul_lo_u32 v4, v4, s3
	s_cbranch_scc1 .LBB15_19
; %bb.18:
	s_load_dwordx4 s[0:3], s[26:27], 0x10
	s_waitcnt lgkmcnt(0)
	s_load_dword s3, s[26:27], 0xc8
                                        ; kill: killed $sgpr26 killed $sgpr27
	v_mul_hi_u32 v6, s1, v5
	v_add_u32_e32 v6, v5, v6
	v_lshrrev_b32_e32 v6, s2, v6
	v_mul_lo_u32 v6, v6, s0
	v_sub_u32_e32 v5, v5, v6
	s_waitcnt lgkmcnt(0)
	v_mad_u64_u32 v[4:5], s[0:1], v5, s3, v[4:5]
.LBB15_19:
	v_mov_b32_e32 v5, 0
	v_lshlrev_b64 v[6:7], 3, v[4:5]
	v_add_u32_e32 v4, 1, v4
	v_mov_b32_e32 v8, s17
	v_add_co_u32_e32 v6, vcc, s16, v6
	v_lshlrev_b64 v[4:5], 3, v[4:5]
	v_addc_co_u32_e32 v7, vcc, v8, v7, vcc
	v_add_co_u32_e32 v4, vcc, s16, v4
	v_addc_co_u32_e32 v5, vcc, v8, v5, vcc
	global_load_dwordx2 v[6:7], v[6:7], off
	v_mul_lo_u32 v8, v1, s24
	global_load_dwordx2 v[13:14], v[4:5], off
	v_mul_lo_u32 v9, v0, s25
	v_mad_u64_u32 v[4:5], s[0:1], v0, s24, 0
	s_mov_b32 s0, 0xd2511f53
	s_mov_b32 s1, 0xcd9e8d57
	v_add3_u32 v5, v5, v9, v8
	v_sub_co_u32_e32 v2, vcc, v2, v4
	v_subb_co_u32_e32 v3, vcc, v3, v5, vcc
	s_mov_b32 s2, 0x800000
	s_mov_b32 s8, 0x3f317217
	;; [unrolled: 1-line block ×5, first 2 shown]
	v_mul_lo_u32 v1, v1, s18
	s_waitcnt vmcnt(1)
	v_add_u32_e32 v20, 0xbb67ae85, v7
	v_add_u32_e32 v22, 0x76cf5d0a, v7
	s_waitcnt vmcnt(0)
	v_add_co_u32_e32 v23, vcc, v13, v2
	v_mul_hi_u32 v15, v23, s0
	v_mul_lo_u32 v23, v23, s0
	v_addc_co_u32_e32 v14, vcc, v14, v3, vcc
	v_xor_b32_e32 v14, v14, v6
	v_xor_b32_e32 v20, v23, v20
	v_mul_hi_u32 v23, v14, s0
	v_mul_lo_u32 v14, v14, s0
	v_xor_b32_e32 v24, v15, v7
	v_add_u32_e32 v19, 0x9e3779b9, v6
	v_xor_b32_e32 v20, v20, v23
	v_xor_b32_e32 v22, v14, v22
	v_mul_hi_u32 v14, v24, s1
	v_mul_lo_u32 v23, v24, s1
	v_add_u32_e32 v21, 0x3c6ef372, v6
	v_mul_hi_u32 v24, v20, s1
	v_xor_b32_e32 v19, v19, v14
	v_xor_b32_e32 v21, v23, v21
	v_mul_hi_u32 v23, v19, s0
	v_mul_lo_u32 v20, v20, s1
	v_xor_b32_e32 v21, v21, v24
	v_add_u32_e32 v18, 0xdaa66d2b, v6
	v_xor_b32_e32 v22, v22, v23
	v_mul_hi_u32 v23, v21, s0
	v_mul_lo_u32 v21, v21, s0
	v_xor_b32_e32 v20, v20, v18
	v_mul_lo_u32 v18, v19, s0
	v_add_u32_e32 v16, 0xed9eba14, v7
	v_xor_b32_e32 v16, v21, v16
	v_mul_hi_u32 v21, v22, s1
	v_add_u32_e32 v17, 0x32370b8f, v7
	v_xor_b32_e32 v18, v18, v17
	v_xor_b32_e32 v23, v18, v23
	v_mul_lo_u32 v22, v22, s1
	v_xor_b32_e32 v20, v20, v21
	v_mul_hi_u32 v21, v23, s1
	v_mul_lo_u32 v23, v23, s1
	v_add_u32_e32 v12, 0x78dde6e4, v6
	v_xor_b32_e32 v22, v22, v12
	v_add_u32_e32 v9, 0x1715609d, v6
	v_xor_b32_e32 v21, v22, v21
	v_mul_hi_u32 v22, v20, s0
	v_mul_lo_u32 v20, v20, s0
	v_xor_b32_e32 v9, v23, v9
	v_mul_hi_u32 v23, v21, s0
	v_mul_lo_u32 v21, v21, s0
	v_add_u32_e32 v5, 0xa9066899, v7
	v_xor_b32_e32 v16, v16, v22
	v_xor_b32_e32 v5, v20, v5
	v_add_u32_e32 v11, 0x646e171e, v7
	v_xor_b32_e32 v5, v5, v23
	v_mul_hi_u32 v20, v16, s1
	v_xor_b32_e32 v11, v21, v11
	v_mul_hi_u32 v21, v5, s1
	v_mul_lo_u32 v5, v5, s1
	v_add_u32_e32 v13, 0x5384540f, v6
	v_xor_b32_e32 v9, v9, v20
	v_mul_lo_u32 v16, v16, s1
	v_xor_b32_e32 v5, v5, v13
	v_mul_hi_u32 v13, v9, s0
	v_mul_lo_u32 v9, v9, s0
	v_add_u32_e32 v8, 0xb54cda56, v6
	v_add_u32_e32 v10, 0x1fd5c5a3, v7
	v_xor_b32_e32 v8, v16, v8
	v_xor_b32_e32 v11, v11, v13
	;; [unrolled: 1-line block ×4, first 2 shown]
	v_mul_hi_u32 v10, v11, s1
	v_mul_hi_u32 v16, v8, s0
	v_mul_lo_u32 v8, v8, s0
	v_add_u32_e32 v15, 0xdb3d7428, v7
	v_xor_b32_e32 v5, v5, v10
	v_xor_b32_e32 v9, v9, v16
	v_mul_hi_u32 v10, v5, s0
	v_mul_hi_u32 v13, v9, s1
	v_mul_lo_u32 v9, v9, s1
	v_xor_b32_e32 v8, v8, v15
	v_add_u32_e32 v4, 0x8ff34781, v6
	v_xor_b32_e32 v8, v8, v10
	v_xor_b32_e32 v4, v9, v4
	v_mul_hi_u32 v9, v8, s1
	v_mov_b32_e32 v19, 0x2f000000
	v_mul_lo_u32 v11, v11, s1
	v_mul_lo_u32 v5, v5, s0
	v_xor_b32_e32 v4, v4, v9
	v_cvt_f32_u32_e32 v4, v4
	v_add_u32_e32 v6, 0xf1bbcdc8, v6
	v_add_u32_e32 v7, 0x96a522ad, v7
	v_mov_b32_e32 v12, 0x41b17218
	v_fmac_f32_e32 v19, 0x2f800000, v4
	v_cmp_gt_f32_e32 vcc, s2, v19
	v_cndmask_b32_e64 v4, 0, 32, vcc
	v_ldexp_f32 v4, v19, v4
	v_log_f32_e32 v4, v4
	v_xor_b32_e32 v6, v11, v6
	v_xor_b32_e32 v6, v6, v13
	;; [unrolled: 1-line block ×3, first 2 shown]
	v_mul_f32_e32 v9, 0x3f317217, v4
	v_fma_f32 v9, v4, s8, -v9
	v_fmac_f32_e32 v9, 0x3377d1cf, v4
	v_mul_lo_u32 v7, v8, s1
	v_cndmask_b32_e32 v8, 0, v12, vcc
	v_fmac_f32_e32 v9, 0x3f317217, v4
	v_cmp_lt_f32_e64 vcc, |v4|, s10
	v_mul_hi_u32 v10, v6, s0
	v_cndmask_b32_e32 v4, v4, v9, vcc
	v_sub_f32_e32 v4, v4, v8
	v_mul_f32_e32 v4, -2.0, v4
	v_mul_f32_e32 v8, 0x4f800000, v4
	v_cmp_gt_f32_e32 vcc, s11, v4
	v_xor_b32_e32 v5, v5, v10
	v_cndmask_b32_e32 v4, v4, v8, vcc
	v_cvt_f32_u32_e32 v5, v5
	v_sqrt_f32_e32 v8, v4
	v_mul_lo_u32 v6, v6, s0
	v_cvt_f32_u32_e32 v7, v7
	v_mov_b32_e32 v18, 0x2f000000
	v_mov_b32_e32 v17, 0x2f000000
	v_fmac_f32_e32 v18, 0x2f800000, v5
	v_add_u32_e32 v5, -1, v8
	v_cvt_f32_u32_e32 v6, v6
	v_fmac_f32_e32 v17, 0x2f800000, v7
	v_fma_f32 v7, -v5, v8, v4
	v_cmp_ge_f32_e64 s[0:1], 0, v7
	v_cndmask_b32_e64 v5, v8, v5, s[0:1]
	v_cmp_gt_f32_e64 s[0:1], s2, v18
	v_mov_b32_e32 v14, 0x2f000000
	v_cndmask_b32_e64 v7, 0, 32, s[0:1]
	v_fmac_f32_e32 v14, 0x2f800000, v6
	v_add_u32_e32 v6, 1, v8
	v_ldexp_f32 v7, v18, v7
	v_fma_f32 v9, -v6, v8, v4
	v_log_f32_e32 v7, v7
	v_cmp_lt_f32_e64 s[2:3], 0, v9
	v_cndmask_b32_e64 v5, v5, v6, s[2:3]
	v_mul_f32_e32 v6, 0x37800000, v5
	v_cndmask_b32_e32 v5, v5, v6, vcc
	v_mul_f32_e32 v6, 0x3f317217, v7
	v_fma_f32 v6, v7, s8, -v6
	v_fmac_f32_e32 v6, 0x3377d1cf, v7
	v_fmac_f32_e32 v6, 0x3f317217, v7
	v_cmp_lt_f32_e64 vcc, |v7|, s10
	v_cndmask_b32_e32 v6, v7, v6, vcc
	v_cndmask_b32_e64 v7, 0, v12, s[0:1]
	v_sub_f32_e32 v6, v6, v7
	v_mul_f32_e32 v6, -2.0, v6
	v_mul_f32_e32 v7, 0x4f800000, v6
	v_cmp_gt_f32_e32 vcc, s11, v6
	v_cndmask_b32_e32 v6, v6, v7, vcc
	v_sqrt_f32_e32 v7, v6
	v_mov_b32_e32 v8, 0x260
	v_cmp_class_f32_e64 s[0:1], v4, v8
	v_cndmask_b32_e64 v4, v5, v4, s[0:1]
	v_add_u32_e32 v5, -1, v7
	v_fma_f32 v9, -v5, v7, v6
	v_cmp_ge_f32_e64 s[0:1], 0, v9
	v_add_u32_e32 v9, 1, v7
	v_cndmask_b32_e64 v5, v7, v5, s[0:1]
	v_fma_f32 v7, -v9, v7, v6
	v_cmp_lt_f32_e64 s[0:1], 0, v7
	v_cndmask_b32_e64 v5, v5, v9, s[0:1]
	v_mul_f32_e32 v7, 0x37800000, v5
	v_cndmask_b32_e32 v5, v5, v7, vcc
	v_cmp_class_f32_e32 vcc, v6, v8
	v_cndmask_b32_e32 v5, v5, v6, vcc
	v_mul_f32_e32 v6, 0x40c90fdb, v17
	v_mul_f32_e32 v8, 0x40c90fdb, v14
	v_mul_f32_e32 v6, 0.15915494, v6
	v_mul_f32_e32 v8, 0.15915494, v8
	v_sin_f32_e32 v7, v6
	v_cos_f32_e32 v6, v6
	v_cos_f32_e32 v9, v8
	v_sin_f32_e32 v8, v8
	v_mul_f32_e32 v10, v7, v4
	v_mul_f32_e32 v11, v6, v4
	;; [unrolled: 1-line block ×4, first 2 shown]
	v_lshlrev_b64 v[4:5], 2, v[2:3]
	s_and_b32 s8, s18, 3
	s_cmp_lg_u64 s[8:9], 0
	v_mad_u64_u32 v[6:7], s[2:3], v0, s18, v[4:5]
	s_cselect_b64 s[0:1], -1, 0
	s_ashr_i32 s2, s19, 31
	s_lshr_b32 s2, s2, 30
	s_add_u32 s2, s18, s2
	v_mul_lo_u32 v0, v0, s19
	s_addc_u32 s3, s19, 0
	s_ashr_i64 s[2:3], s[2:3], 2
	v_cmp_le_i64_e32 vcc, s[2:3], v[2:3]
	v_add3_u32 v7, v1, v7, v0
	s_or_b64 s[0:1], s[0:1], vcc
	s_and_saveexec_b64 s[2:3], s[0:1]
	s_xor_b64 s[0:1], exec, s[2:3]
	s_cbranch_execz .LBB15_26
; %bb.20:
	v_cmp_gt_i64_e32 vcc, s[18:19], v[4:5]
	s_and_saveexec_b64 s[2:3], vcc
	s_cbranch_execz .LBB15_25
; %bb.21:
	v_lshlrev_b64 v[0:1], 1, v[6:7]
	s_waitcnt lgkmcnt(0)
	v_mov_b32_e32 v2, s5
	v_add_co_u32_e32 v0, vcc, s4, v0
	v_addc_co_u32_e32 v1, vcc, v2, v1, vcc
	v_mov_b32_e32 v2, s6
	v_fma_f32 v2, s7, v11, v2
	v_bfe_u32 v3, v2, 16, 1
	s_movk_i32 s8, 0x7fff
	v_add3_u32 v3, v2, v3, s8
	v_cmp_o_f32_e32 vcc, v2, v2
	v_mov_b32_e32 v2, 0x7fc0
	v_or_b32_e32 v6, 1, v4
	v_mov_b32_e32 v7, v5
	v_cndmask_b32_sdwa v3, v2, v3, vcc dst_sel:DWORD dst_unused:UNUSED_PAD src0_sel:DWORD src1_sel:WORD_1
	v_cmp_gt_u64_e32 vcc, s[18:19], v[6:7]
	global_store_short v[0:1], v3, off
	s_and_b64 exec, exec, vcc
	s_cbranch_execz .LBB15_25
; %bb.22:
	v_mov_b32_e32 v3, s6
	v_fma_f32 v3, s7, v10, v3
	v_bfe_u32 v6, v3, 16, 1
	v_add3_u32 v6, v3, v6, s8
	v_cmp_o_f32_e32 vcc, v3, v3
	v_cndmask_b32_sdwa v6, v2, v6, vcc dst_sel:DWORD dst_unused:UNUSED_PAD src0_sel:DWORD src1_sel:WORD_1
	v_or_b32_e32 v2, 2, v4
	v_mov_b32_e32 v3, v5
	v_cmp_gt_u64_e32 vcc, s[18:19], v[2:3]
	global_store_short v[0:1], v6, off offset:2
	s_and_b64 exec, exec, vcc
	s_cbranch_execz .LBB15_25
; %bb.23:
	v_mov_b32_e32 v2, s6
	v_fma_f32 v2, s7, v9, v2
	v_bfe_u32 v3, v2, 16, 1
	v_add3_u32 v3, v2, v3, s8
	v_cmp_o_f32_e32 vcc, v2, v2
	v_mov_b32_e32 v2, 0x7fc0
	v_or_b32_e32 v4, 3, v4
	v_cndmask_b32_sdwa v3, v2, v3, vcc dst_sel:DWORD dst_unused:UNUSED_PAD src0_sel:DWORD src1_sel:WORD_1
	v_cmp_gt_u64_e32 vcc, s[18:19], v[4:5]
	global_store_short v[0:1], v3, off offset:4
	s_and_b64 exec, exec, vcc
	s_cbranch_execz .LBB15_25
; %bb.24:
	v_mov_b32_e32 v3, s6
	v_fma_f32 v3, s7, v8, v3
	v_bfe_u32 v4, v3, 16, 1
	v_add3_u32 v4, v3, v4, s8
	v_cmp_o_f32_e32 vcc, v3, v3
	v_cndmask_b32_sdwa v2, v2, v4, vcc dst_sel:DWORD dst_unused:UNUSED_PAD src0_sel:DWORD src1_sel:WORD_1
	global_store_short v[0:1], v2, off offset:6
.LBB15_25:
	s_or_b64 exec, exec, s[2:3]
                                        ; implicit-def: $vgpr11
                                        ; implicit-def: $vgpr10
                                        ; implicit-def: $vgpr9
                                        ; implicit-def: $vgpr8
                                        ; implicit-def: $vgpr6_vgpr7
.LBB15_26:
	s_andn2_saveexec_b64 s[0:1], s[0:1]
	s_cbranch_execz .LBB15_28
; %bb.27:
	v_mov_b32_e32 v0, s6
	v_fma_f32 v2, s7, v11, v0
	v_bfe_u32 v1, v2, 16, 1
	s_movk_i32 s0, 0x7fff
	v_fma_f32 v4, s7, v10, v0
	v_add3_u32 v3, v2, v1, s0
	v_bfe_u32 v1, v4, 16, 1
	v_add3_u32 v1, v4, v1, s0
	v_fma_f32 v9, s7, v9, v0
	v_fma_f32 v8, s7, v8, v0
	v_and_b32_e32 v5, 0xffff0000, v1
	v_bfe_u32 v1, v9, 16, 1
	v_bfe_u32 v0, v8, 16, 1
	v_add3_u32 v10, v9, v1, s0
	v_add3_u32 v11, v8, v0, s0
	v_lshlrev_b64 v[0:1], 1, v[6:7]
	s_waitcnt lgkmcnt(0)
	v_mov_b32_e32 v6, s5
	v_add_co_u32_e32 v0, vcc, s4, v0
	v_addc_co_u32_e32 v1, vcc, v6, v1, vcc
	v_and_b32_e32 v6, 0xffff0000, v11
	v_mov_b32_e32 v7, 0x7fc00000
	v_cmp_o_f32_e32 vcc, v8, v8
	v_cndmask_b32_e32 v6, v7, v6, vcc
	v_cmp_o_f32_e32 vcc, v9, v9
	v_mov_b32_e32 v8, 0x7fc0
	v_cndmask_b32_sdwa v9, v8, v10, vcc dst_sel:DWORD dst_unused:UNUSED_PAD src0_sel:DWORD src1_sel:WORD_1
	v_cmp_o_f32_e32 vcc, v4, v4
	v_cndmask_b32_e32 v4, v7, v5, vcc
	v_cmp_o_f32_e32 vcc, v2, v2
	v_or_b32_e32 v6, v6, v9
	v_cndmask_b32_sdwa v2, v8, v3, vcc dst_sel:DWORD dst_unused:UNUSED_PAD src0_sel:DWORD src1_sel:WORD_1
	v_or3_b32 v3, v6, 0, 0
	v_or3_b32 v2, 0, v4, v2
	global_store_dwordx2 v[0:1], v[2:3], off
.LBB15_28:
	s_endpgm
	.section	.rodata,"a",@progbits
	.p2align	6, 0x0
	.amdhsa_kernel _ZN2at6native12_GLOBAL__N_123philox_multi_key_kernelIN3c108BFloat16EZZZZNS0_20_philox_normal_cuda_ERNS_6TensorERKS5_ddENKUlvE_clEvENKUlvE2_clEvENKUlvE_clEvEUlmmE0_ZZZNS0_20_philox_normal_cuda_ES6_S8_ddENKS9_clEvENKSA_clEvEUlfE_EEvPT_PKmllT0_T1_16OffsetCalculatorILi1EjLb0EE
		.amdhsa_group_segment_fixed_size 0
		.amdhsa_private_segment_fixed_size 0
		.amdhsa_kernarg_size 560
		.amdhsa_user_sgpr_count 6
		.amdhsa_user_sgpr_private_segment_buffer 1
		.amdhsa_user_sgpr_dispatch_ptr 0
		.amdhsa_user_sgpr_queue_ptr 0
		.amdhsa_user_sgpr_kernarg_segment_ptr 1
		.amdhsa_user_sgpr_dispatch_id 0
		.amdhsa_user_sgpr_flat_scratch_init 0
		.amdhsa_user_sgpr_private_segment_size 0
		.amdhsa_uses_dynamic_stack 0
		.amdhsa_system_sgpr_private_segment_wavefront_offset 0
		.amdhsa_system_sgpr_workgroup_id_x 1
		.amdhsa_system_sgpr_workgroup_id_y 0
		.amdhsa_system_sgpr_workgroup_id_z 0
		.amdhsa_system_sgpr_workgroup_info 0
		.amdhsa_system_vgpr_workitem_id 0
		.amdhsa_next_free_vgpr 25
		.amdhsa_next_free_sgpr 37
		.amdhsa_reserve_vcc 1
		.amdhsa_reserve_flat_scratch 0
		.amdhsa_float_round_mode_32 0
		.amdhsa_float_round_mode_16_64 0
		.amdhsa_float_denorm_mode_32 3
		.amdhsa_float_denorm_mode_16_64 3
		.amdhsa_dx10_clamp 1
		.amdhsa_ieee_mode 1
		.amdhsa_fp16_overflow 0
		.amdhsa_exception_fp_ieee_invalid_op 0
		.amdhsa_exception_fp_denorm_src 0
		.amdhsa_exception_fp_ieee_div_zero 0
		.amdhsa_exception_fp_ieee_overflow 0
		.amdhsa_exception_fp_ieee_underflow 0
		.amdhsa_exception_fp_ieee_inexact 0
		.amdhsa_exception_int_div_zero 0
	.end_amdhsa_kernel
	.section	.text._ZN2at6native12_GLOBAL__N_123philox_multi_key_kernelIN3c108BFloat16EZZZZNS0_20_philox_normal_cuda_ERNS_6TensorERKS5_ddENKUlvE_clEvENKUlvE2_clEvENKUlvE_clEvEUlmmE0_ZZZNS0_20_philox_normal_cuda_ES6_S8_ddENKS9_clEvENKSA_clEvEUlfE_EEvPT_PKmllT0_T1_16OffsetCalculatorILi1EjLb0EE,"axG",@progbits,_ZN2at6native12_GLOBAL__N_123philox_multi_key_kernelIN3c108BFloat16EZZZZNS0_20_philox_normal_cuda_ERNS_6TensorERKS5_ddENKUlvE_clEvENKUlvE2_clEvENKUlvE_clEvEUlmmE0_ZZZNS0_20_philox_normal_cuda_ES6_S8_ddENKS9_clEvENKSA_clEvEUlfE_EEvPT_PKmllT0_T1_16OffsetCalculatorILi1EjLb0EE,comdat
.Lfunc_end15:
	.size	_ZN2at6native12_GLOBAL__N_123philox_multi_key_kernelIN3c108BFloat16EZZZZNS0_20_philox_normal_cuda_ERNS_6TensorERKS5_ddENKUlvE_clEvENKUlvE2_clEvENKUlvE_clEvEUlmmE0_ZZZNS0_20_philox_normal_cuda_ES6_S8_ddENKS9_clEvENKSA_clEvEUlfE_EEvPT_PKmllT0_T1_16OffsetCalculatorILi1EjLb0EE, .Lfunc_end15-_ZN2at6native12_GLOBAL__N_123philox_multi_key_kernelIN3c108BFloat16EZZZZNS0_20_philox_normal_cuda_ERNS_6TensorERKS5_ddENKUlvE_clEvENKUlvE2_clEvENKUlvE_clEvEUlmmE0_ZZZNS0_20_philox_normal_cuda_ES6_S8_ddENKS9_clEvENKSA_clEvEUlfE_EEvPT_PKmllT0_T1_16OffsetCalculatorILi1EjLb0EE
                                        ; -- End function
	.set _ZN2at6native12_GLOBAL__N_123philox_multi_key_kernelIN3c108BFloat16EZZZZNS0_20_philox_normal_cuda_ERNS_6TensorERKS5_ddENKUlvE_clEvENKUlvE2_clEvENKUlvE_clEvEUlmmE0_ZZZNS0_20_philox_normal_cuda_ES6_S8_ddENKS9_clEvENKSA_clEvEUlfE_EEvPT_PKmllT0_T1_16OffsetCalculatorILi1EjLb0EE.num_vgpr, 25
	.set _ZN2at6native12_GLOBAL__N_123philox_multi_key_kernelIN3c108BFloat16EZZZZNS0_20_philox_normal_cuda_ERNS_6TensorERKS5_ddENKUlvE_clEvENKUlvE2_clEvENKUlvE_clEvEUlmmE0_ZZZNS0_20_philox_normal_cuda_ES6_S8_ddENKS9_clEvENKSA_clEvEUlfE_EEvPT_PKmllT0_T1_16OffsetCalculatorILi1EjLb0EE.num_agpr, 0
	.set _ZN2at6native12_GLOBAL__N_123philox_multi_key_kernelIN3c108BFloat16EZZZZNS0_20_philox_normal_cuda_ERNS_6TensorERKS5_ddENKUlvE_clEvENKUlvE2_clEvENKUlvE_clEvEUlmmE0_ZZZNS0_20_philox_normal_cuda_ES6_S8_ddENKS9_clEvENKSA_clEvEUlfE_EEvPT_PKmllT0_T1_16OffsetCalculatorILi1EjLb0EE.numbered_sgpr, 37
	.set _ZN2at6native12_GLOBAL__N_123philox_multi_key_kernelIN3c108BFloat16EZZZZNS0_20_philox_normal_cuda_ERNS_6TensorERKS5_ddENKUlvE_clEvENKUlvE2_clEvENKUlvE_clEvEUlmmE0_ZZZNS0_20_philox_normal_cuda_ES6_S8_ddENKS9_clEvENKSA_clEvEUlfE_EEvPT_PKmllT0_T1_16OffsetCalculatorILi1EjLb0EE.num_named_barrier, 0
	.set _ZN2at6native12_GLOBAL__N_123philox_multi_key_kernelIN3c108BFloat16EZZZZNS0_20_philox_normal_cuda_ERNS_6TensorERKS5_ddENKUlvE_clEvENKUlvE2_clEvENKUlvE_clEvEUlmmE0_ZZZNS0_20_philox_normal_cuda_ES6_S8_ddENKS9_clEvENKSA_clEvEUlfE_EEvPT_PKmllT0_T1_16OffsetCalculatorILi1EjLb0EE.private_seg_size, 0
	.set _ZN2at6native12_GLOBAL__N_123philox_multi_key_kernelIN3c108BFloat16EZZZZNS0_20_philox_normal_cuda_ERNS_6TensorERKS5_ddENKUlvE_clEvENKUlvE2_clEvENKUlvE_clEvEUlmmE0_ZZZNS0_20_philox_normal_cuda_ES6_S8_ddENKS9_clEvENKSA_clEvEUlfE_EEvPT_PKmllT0_T1_16OffsetCalculatorILi1EjLb0EE.uses_vcc, 1
	.set _ZN2at6native12_GLOBAL__N_123philox_multi_key_kernelIN3c108BFloat16EZZZZNS0_20_philox_normal_cuda_ERNS_6TensorERKS5_ddENKUlvE_clEvENKUlvE2_clEvENKUlvE_clEvEUlmmE0_ZZZNS0_20_philox_normal_cuda_ES6_S8_ddENKS9_clEvENKSA_clEvEUlfE_EEvPT_PKmllT0_T1_16OffsetCalculatorILi1EjLb0EE.uses_flat_scratch, 0
	.set _ZN2at6native12_GLOBAL__N_123philox_multi_key_kernelIN3c108BFloat16EZZZZNS0_20_philox_normal_cuda_ERNS_6TensorERKS5_ddENKUlvE_clEvENKUlvE2_clEvENKUlvE_clEvEUlmmE0_ZZZNS0_20_philox_normal_cuda_ES6_S8_ddENKS9_clEvENKSA_clEvEUlfE_EEvPT_PKmllT0_T1_16OffsetCalculatorILi1EjLb0EE.has_dyn_sized_stack, 0
	.set _ZN2at6native12_GLOBAL__N_123philox_multi_key_kernelIN3c108BFloat16EZZZZNS0_20_philox_normal_cuda_ERNS_6TensorERKS5_ddENKUlvE_clEvENKUlvE2_clEvENKUlvE_clEvEUlmmE0_ZZZNS0_20_philox_normal_cuda_ES6_S8_ddENKS9_clEvENKSA_clEvEUlfE_EEvPT_PKmllT0_T1_16OffsetCalculatorILi1EjLb0EE.has_recursion, 0
	.set _ZN2at6native12_GLOBAL__N_123philox_multi_key_kernelIN3c108BFloat16EZZZZNS0_20_philox_normal_cuda_ERNS_6TensorERKS5_ddENKUlvE_clEvENKUlvE2_clEvENKUlvE_clEvEUlmmE0_ZZZNS0_20_philox_normal_cuda_ES6_S8_ddENKS9_clEvENKSA_clEvEUlfE_EEvPT_PKmllT0_T1_16OffsetCalculatorILi1EjLb0EE.has_indirect_call, 0
	.section	.AMDGPU.csdata,"",@progbits
; Kernel info:
; codeLenInByte = 3436
; TotalNumSgprs: 41
; NumVgprs: 25
; ScratchSize: 0
; MemoryBound: 0
; FloatMode: 240
; IeeeMode: 1
; LDSByteSize: 0 bytes/workgroup (compile time only)
; SGPRBlocks: 5
; VGPRBlocks: 6
; NumSGPRsForWavesPerEU: 41
; NumVGPRsForWavesPerEU: 25
; Occupancy: 9
; WaveLimiterHint : 1
; COMPUTE_PGM_RSRC2:SCRATCH_EN: 0
; COMPUTE_PGM_RSRC2:USER_SGPR: 6
; COMPUTE_PGM_RSRC2:TRAP_HANDLER: 0
; COMPUTE_PGM_RSRC2:TGID_X_EN: 1
; COMPUTE_PGM_RSRC2:TGID_Y_EN: 0
; COMPUTE_PGM_RSRC2:TGID_Z_EN: 0
; COMPUTE_PGM_RSRC2:TIDIG_COMP_CNT: 0
	.section	.AMDGPU.gpr_maximums,"",@progbits
	.set amdgpu.max_num_vgpr, 0
	.set amdgpu.max_num_agpr, 0
	.set amdgpu.max_num_sgpr, 0
	.section	.AMDGPU.csdata,"",@progbits
	.type	__hip_cuid_8cf8f19d81c0c42,@object ; @__hip_cuid_8cf8f19d81c0c42
	.section	.bss,"aw",@nobits
	.globl	__hip_cuid_8cf8f19d81c0c42
__hip_cuid_8cf8f19d81c0c42:
	.byte	0                               ; 0x0
	.size	__hip_cuid_8cf8f19d81c0c42, 1

	.ident	"AMD clang version 22.0.0git (https://github.com/RadeonOpenCompute/llvm-project roc-7.2.4 26084 f58b06dce1f9c15707c5f808fd002e18c2accf7e)"
	.section	".note.GNU-stack","",@progbits
	.addrsig
	.addrsig_sym __hip_cuid_8cf8f19d81c0c42
	.amdgpu_metadata
---
amdhsa.kernels:
  - .args:
      - .actual_access:  write_only
        .address_space:  global
        .offset:         0
        .size:           8
        .value_kind:     global_buffer
      - .actual_access:  read_only
        .address_space:  global
        .offset:         8
        .size:           8
        .value_kind:     global_buffer
      - .offset:         16
        .size:           8
        .value_kind:     by_value
      - .offset:         24
        .size:           1
        .value_kind:     by_value
      - .offset:         32
        .size:           16
        .value_kind:     by_value
      - .offset:         48
        .size:           4
        .value_kind:     hidden_block_count_x
      - .offset:         52
        .size:           4
        .value_kind:     hidden_block_count_y
      - .offset:         56
        .size:           4
        .value_kind:     hidden_block_count_z
      - .offset:         60
        .size:           2
        .value_kind:     hidden_group_size_x
      - .offset:         62
        .size:           2
        .value_kind:     hidden_group_size_y
      - .offset:         64
        .size:           2
        .value_kind:     hidden_group_size_z
      - .offset:         66
        .size:           2
        .value_kind:     hidden_remainder_x
      - .offset:         68
        .size:           2
        .value_kind:     hidden_remainder_y
      - .offset:         70
        .size:           2
        .value_kind:     hidden_remainder_z
      - .offset:         88
        .size:           8
        .value_kind:     hidden_global_offset_x
      - .offset:         96
        .size:           8
        .value_kind:     hidden_global_offset_y
      - .offset:         104
        .size:           8
        .value_kind:     hidden_global_offset_z
      - .offset:         112
        .size:           2
        .value_kind:     hidden_grid_dims
    .group_segment_fixed_size: 16384
    .kernarg_segment_align: 8
    .kernarg_segment_size: 304
    .language:       OpenCL C
    .language_version:
      - 2
      - 0
    .max_flat_workgroup_size: 1024
    .name:           _ZN2at6native12_GLOBAL__N_124philox_single_key_kernelIdZZZZNS0_21_philox_uniform_cuda_ERNS_6TensorERKS3_ddENKUlvE_clEvENKUlvE_clEvENKUlvE_clEvEUlmmE_ZZZNS0_21_philox_uniform_cuda_ES4_S6_ddENKS7_clEvENKS8_clEvEUlT_E_EEvPSB_PKmlT0_T1_
    .private_segment_fixed_size: 0
    .sgpr_count:     28
    .sgpr_spill_count: 0
    .symbol:         _ZN2at6native12_GLOBAL__N_124philox_single_key_kernelIdZZZZNS0_21_philox_uniform_cuda_ERNS_6TensorERKS3_ddENKUlvE_clEvENKUlvE_clEvENKUlvE_clEvEUlmmE_ZZZNS0_21_philox_uniform_cuda_ES4_S6_ddENKS7_clEvENKS8_clEvEUlT_E_EEvPSB_PKmlT0_T1_.kd
    .uniform_work_group_size: 1
    .uses_dynamic_stack: false
    .vgpr_count:     14
    .vgpr_spill_count: 0
    .wavefront_size: 64
  - .args:
      - .actual_access:  write_only
        .address_space:  global
        .offset:         0
        .size:           8
        .value_kind:     global_buffer
      - .actual_access:  read_only
        .address_space:  global
        .offset:         8
        .size:           8
        .value_kind:     global_buffer
      - .offset:         16
        .size:           8
        .value_kind:     by_value
      - .offset:         24
        .size:           8
        .value_kind:     by_value
      - .offset:         32
        .size:           1
        .value_kind:     by_value
      - .offset:         40
        .size:           16
        .value_kind:     by_value
      - .offset:         56
        .size:           260
        .value_kind:     by_value
      - .offset:         320
        .size:           4
        .value_kind:     hidden_block_count_x
      - .offset:         324
        .size:           4
        .value_kind:     hidden_block_count_y
      - .offset:         328
        .size:           4
        .value_kind:     hidden_block_count_z
      - .offset:         332
        .size:           2
        .value_kind:     hidden_group_size_x
      - .offset:         334
        .size:           2
        .value_kind:     hidden_group_size_y
      - .offset:         336
        .size:           2
        .value_kind:     hidden_group_size_z
      - .offset:         338
        .size:           2
        .value_kind:     hidden_remainder_x
      - .offset:         340
        .size:           2
        .value_kind:     hidden_remainder_y
      - .offset:         342
        .size:           2
        .value_kind:     hidden_remainder_z
      - .offset:         360
        .size:           8
        .value_kind:     hidden_global_offset_x
      - .offset:         368
        .size:           8
        .value_kind:     hidden_global_offset_y
      - .offset:         376
        .size:           8
        .value_kind:     hidden_global_offset_z
      - .offset:         384
        .size:           2
        .value_kind:     hidden_grid_dims
    .group_segment_fixed_size: 0
    .kernarg_segment_align: 8
    .kernarg_segment_size: 576
    .language:       OpenCL C
    .language_version:
      - 2
      - 0
    .max_flat_workgroup_size: 1024
    .name:           _ZN2at6native12_GLOBAL__N_123philox_multi_key_kernelIdZZZZNS0_21_philox_uniform_cuda_ERNS_6TensorERKS3_ddENKUlvE_clEvENKUlvE_clEvENKUlvE_clEvEUlmmE_ZZZNS0_21_philox_uniform_cuda_ES4_S6_ddENKS7_clEvENKS8_clEvEUlT_E_EEvPSB_PKmllT0_T1_16OffsetCalculatorILi1EjLb0EE
    .private_segment_fixed_size: 0
    .sgpr_count:     39
    .sgpr_spill_count: 0
    .symbol:         _ZN2at6native12_GLOBAL__N_123philox_multi_key_kernelIdZZZZNS0_21_philox_uniform_cuda_ERNS_6TensorERKS3_ddENKUlvE_clEvENKUlvE_clEvENKUlvE_clEvEUlmmE_ZZZNS0_21_philox_uniform_cuda_ES4_S6_ddENKS7_clEvENKS8_clEvEUlT_E_EEvPSB_PKmllT0_T1_16OffsetCalculatorILi1EjLb0EE.kd
    .uniform_work_group_size: 1
    .uses_dynamic_stack: false
    .vgpr_count:     20
    .vgpr_spill_count: 0
    .wavefront_size: 64
  - .args:
      - .actual_access:  write_only
        .address_space:  global
        .offset:         0
        .size:           8
        .value_kind:     global_buffer
      - .actual_access:  read_only
        .address_space:  global
        .offset:         8
        .size:           8
        .value_kind:     global_buffer
      - .offset:         16
        .size:           8
        .value_kind:     by_value
      - .offset:         24
        .size:           1
        .value_kind:     by_value
      - .offset:         28
        .size:           8
        .value_kind:     by_value
      - .offset:         40
        .size:           4
        .value_kind:     hidden_block_count_x
      - .offset:         44
        .size:           4
        .value_kind:     hidden_block_count_y
      - .offset:         48
        .size:           4
        .value_kind:     hidden_block_count_z
      - .offset:         52
        .size:           2
        .value_kind:     hidden_group_size_x
      - .offset:         54
        .size:           2
        .value_kind:     hidden_group_size_y
      - .offset:         56
        .size:           2
        .value_kind:     hidden_group_size_z
      - .offset:         58
        .size:           2
        .value_kind:     hidden_remainder_x
      - .offset:         60
        .size:           2
        .value_kind:     hidden_remainder_y
      - .offset:         62
        .size:           2
        .value_kind:     hidden_remainder_z
      - .offset:         80
        .size:           8
        .value_kind:     hidden_global_offset_x
      - .offset:         88
        .size:           8
        .value_kind:     hidden_global_offset_y
      - .offset:         96
        .size:           8
        .value_kind:     hidden_global_offset_z
      - .offset:         104
        .size:           2
        .value_kind:     hidden_grid_dims
    .group_segment_fixed_size: 16384
    .kernarg_segment_align: 8
    .kernarg_segment_size: 296
    .language:       OpenCL C
    .language_version:
      - 2
      - 0
    .max_flat_workgroup_size: 1024
    .name:           _ZN2at6native12_GLOBAL__N_124philox_single_key_kernelIfZZZZNS0_21_philox_uniform_cuda_ERNS_6TensorERKS3_ddENKUlvE_clEvENKUlvE0_clEvENKUlvE_clEvEUlmmE0_ZZZNS0_21_philox_uniform_cuda_ES4_S6_ddENKS7_clEvENKS8_clEvEUlT_E_EEvPSB_PKmlT0_T1_
    .private_segment_fixed_size: 0
    .sgpr_count:     27
    .sgpr_spill_count: 0
    .symbol:         _ZN2at6native12_GLOBAL__N_124philox_single_key_kernelIfZZZZNS0_21_philox_uniform_cuda_ERNS_6TensorERKS3_ddENKUlvE_clEvENKUlvE0_clEvENKUlvE_clEvEUlmmE0_ZZZNS0_21_philox_uniform_cuda_ES4_S6_ddENKS7_clEvENKS8_clEvEUlT_E_EEvPSB_PKmlT0_T1_.kd
    .uniform_work_group_size: 1
    .uses_dynamic_stack: false
    .vgpr_count:     12
    .vgpr_spill_count: 0
    .wavefront_size: 64
  - .args:
      - .actual_access:  write_only
        .address_space:  global
        .offset:         0
        .size:           8
        .value_kind:     global_buffer
      - .actual_access:  read_only
        .address_space:  global
        .offset:         8
        .size:           8
        .value_kind:     global_buffer
      - .offset:         16
        .size:           8
        .value_kind:     by_value
      - .offset:         24
        .size:           8
        .value_kind:     by_value
      - .offset:         32
        .size:           1
        .value_kind:     by_value
      - .offset:         36
        .size:           8
        .value_kind:     by_value
      - .offset:         44
        .size:           260
        .value_kind:     by_value
      - .offset:         304
        .size:           4
        .value_kind:     hidden_block_count_x
      - .offset:         308
        .size:           4
        .value_kind:     hidden_block_count_y
      - .offset:         312
        .size:           4
        .value_kind:     hidden_block_count_z
      - .offset:         316
        .size:           2
        .value_kind:     hidden_group_size_x
      - .offset:         318
        .size:           2
        .value_kind:     hidden_group_size_y
      - .offset:         320
        .size:           2
        .value_kind:     hidden_group_size_z
      - .offset:         322
        .size:           2
        .value_kind:     hidden_remainder_x
      - .offset:         324
        .size:           2
        .value_kind:     hidden_remainder_y
      - .offset:         326
        .size:           2
        .value_kind:     hidden_remainder_z
      - .offset:         344
        .size:           8
        .value_kind:     hidden_global_offset_x
      - .offset:         352
        .size:           8
        .value_kind:     hidden_global_offset_y
      - .offset:         360
        .size:           8
        .value_kind:     hidden_global_offset_z
      - .offset:         368
        .size:           2
        .value_kind:     hidden_grid_dims
    .group_segment_fixed_size: 0
    .kernarg_segment_align: 8
    .kernarg_segment_size: 560
    .language:       OpenCL C
    .language_version:
      - 2
      - 0
    .max_flat_workgroup_size: 1024
    .name:           _ZN2at6native12_GLOBAL__N_123philox_multi_key_kernelIfZZZZNS0_21_philox_uniform_cuda_ERNS_6TensorERKS3_ddENKUlvE_clEvENKUlvE0_clEvENKUlvE_clEvEUlmmE0_ZZZNS0_21_philox_uniform_cuda_ES4_S6_ddENKS7_clEvENKS8_clEvEUlT_E_EEvPSB_PKmllT0_T1_16OffsetCalculatorILi1EjLb0EE
    .private_segment_fixed_size: 0
    .sgpr_count:     41
    .sgpr_spill_count: 0
    .symbol:         _ZN2at6native12_GLOBAL__N_123philox_multi_key_kernelIfZZZZNS0_21_philox_uniform_cuda_ERNS_6TensorERKS3_ddENKUlvE_clEvENKUlvE0_clEvENKUlvE_clEvEUlmmE0_ZZZNS0_21_philox_uniform_cuda_ES4_S6_ddENKS7_clEvENKS8_clEvEUlT_E_EEvPSB_PKmllT0_T1_16OffsetCalculatorILi1EjLb0EE.kd
    .uniform_work_group_size: 1
    .uses_dynamic_stack: false
    .vgpr_count:     25
    .vgpr_spill_count: 0
    .wavefront_size: 64
  - .args:
      - .actual_access:  write_only
        .address_space:  global
        .offset:         0
        .size:           8
        .value_kind:     global_buffer
      - .actual_access:  read_only
        .address_space:  global
        .offset:         8
        .size:           8
        .value_kind:     global_buffer
      - .offset:         16
        .size:           8
        .value_kind:     by_value
      - .offset:         24
        .size:           1
        .value_kind:     by_value
      - .offset:         26
        .size:           4
        .value_kind:     by_value
      - .offset:         32
        .size:           4
        .value_kind:     hidden_block_count_x
      - .offset:         36
        .size:           4
        .value_kind:     hidden_block_count_y
      - .offset:         40
        .size:           4
        .value_kind:     hidden_block_count_z
      - .offset:         44
        .size:           2
        .value_kind:     hidden_group_size_x
      - .offset:         46
        .size:           2
        .value_kind:     hidden_group_size_y
      - .offset:         48
        .size:           2
        .value_kind:     hidden_group_size_z
      - .offset:         50
        .size:           2
        .value_kind:     hidden_remainder_x
      - .offset:         52
        .size:           2
        .value_kind:     hidden_remainder_y
      - .offset:         54
        .size:           2
        .value_kind:     hidden_remainder_z
      - .offset:         72
        .size:           8
        .value_kind:     hidden_global_offset_x
      - .offset:         80
        .size:           8
        .value_kind:     hidden_global_offset_y
      - .offset:         88
        .size:           8
        .value_kind:     hidden_global_offset_z
      - .offset:         96
        .size:           2
        .value_kind:     hidden_grid_dims
    .group_segment_fixed_size: 16384
    .kernarg_segment_align: 8
    .kernarg_segment_size: 288
    .language:       OpenCL C
    .language_version:
      - 2
      - 0
    .max_flat_workgroup_size: 1024
    .name:           _ZN2at6native12_GLOBAL__N_124philox_single_key_kernelIN3c104HalfEZZZZNS0_21_philox_uniform_cuda_ERNS_6TensorERKS5_ddENKUlvE_clEvENKUlvE1_clEvENKUlvE_clEvEUlmmE0_ZZZNS0_21_philox_uniform_cuda_ES6_S8_ddENKS9_clEvENKSA_clEvEUlT_E_EEvPSD_PKmlT0_T1_
    .private_segment_fixed_size: 0
    .sgpr_count:     25
    .sgpr_spill_count: 0
    .symbol:         _ZN2at6native12_GLOBAL__N_124philox_single_key_kernelIN3c104HalfEZZZZNS0_21_philox_uniform_cuda_ERNS_6TensorERKS5_ddENKUlvE_clEvENKUlvE1_clEvENKUlvE_clEvEUlmmE0_ZZZNS0_21_philox_uniform_cuda_ES6_S8_ddENKS9_clEvENKSA_clEvEUlT_E_EEvPSD_PKmlT0_T1_.kd
    .uniform_work_group_size: 1
    .uses_dynamic_stack: false
    .vgpr_count:     14
    .vgpr_spill_count: 0
    .wavefront_size: 64
  - .args:
      - .actual_access:  write_only
        .address_space:  global
        .offset:         0
        .size:           8
        .value_kind:     global_buffer
      - .actual_access:  read_only
        .address_space:  global
        .offset:         8
        .size:           8
        .value_kind:     global_buffer
      - .offset:         16
        .size:           8
        .value_kind:     by_value
      - .offset:         24
        .size:           8
        .value_kind:     by_value
      - .offset:         32
        .size:           1
        .value_kind:     by_value
      - .offset:         34
        .size:           4
        .value_kind:     by_value
      - .offset:         40
        .size:           260
        .value_kind:     by_value
      - .offset:         304
        .size:           4
        .value_kind:     hidden_block_count_x
      - .offset:         308
        .size:           4
        .value_kind:     hidden_block_count_y
      - .offset:         312
        .size:           4
        .value_kind:     hidden_block_count_z
      - .offset:         316
        .size:           2
        .value_kind:     hidden_group_size_x
      - .offset:         318
        .size:           2
        .value_kind:     hidden_group_size_y
      - .offset:         320
        .size:           2
        .value_kind:     hidden_group_size_z
      - .offset:         322
        .size:           2
        .value_kind:     hidden_remainder_x
      - .offset:         324
        .size:           2
        .value_kind:     hidden_remainder_y
      - .offset:         326
        .size:           2
        .value_kind:     hidden_remainder_z
      - .offset:         344
        .size:           8
        .value_kind:     hidden_global_offset_x
      - .offset:         352
        .size:           8
        .value_kind:     hidden_global_offset_y
      - .offset:         360
        .size:           8
        .value_kind:     hidden_global_offset_z
      - .offset:         368
        .size:           2
        .value_kind:     hidden_grid_dims
    .group_segment_fixed_size: 0
    .kernarg_segment_align: 8
    .kernarg_segment_size: 560
    .language:       OpenCL C
    .language_version:
      - 2
      - 0
    .max_flat_workgroup_size: 1024
    .name:           _ZN2at6native12_GLOBAL__N_123philox_multi_key_kernelIN3c104HalfEZZZZNS0_21_philox_uniform_cuda_ERNS_6TensorERKS5_ddENKUlvE_clEvENKUlvE1_clEvENKUlvE_clEvEUlmmE0_ZZZNS0_21_philox_uniform_cuda_ES6_S8_ddENKS9_clEvENKSA_clEvEUlT_E_EEvPSD_PKmllT0_T1_16OffsetCalculatorILi1EjLb0EE
    .private_segment_fixed_size: 0
    .sgpr_count:     39
    .sgpr_spill_count: 0
    .symbol:         _ZN2at6native12_GLOBAL__N_123philox_multi_key_kernelIN3c104HalfEZZZZNS0_21_philox_uniform_cuda_ERNS_6TensorERKS5_ddENKUlvE_clEvENKUlvE1_clEvENKUlvE_clEvEUlmmE0_ZZZNS0_21_philox_uniform_cuda_ES6_S8_ddENKS9_clEvENKSA_clEvEUlT_E_EEvPSD_PKmllT0_T1_16OffsetCalculatorILi1EjLb0EE.kd
    .uniform_work_group_size: 1
    .uses_dynamic_stack: false
    .vgpr_count:     26
    .vgpr_spill_count: 0
    .wavefront_size: 64
  - .args:
      - .actual_access:  write_only
        .address_space:  global
        .offset:         0
        .size:           8
        .value_kind:     global_buffer
      - .actual_access:  read_only
        .address_space:  global
        .offset:         8
        .size:           8
        .value_kind:     global_buffer
      - .offset:         16
        .size:           8
        .value_kind:     by_value
      - .offset:         24
        .size:           1
        .value_kind:     by_value
      - .offset:         26
        .size:           4
        .value_kind:     by_value
      - .offset:         32
        .size:           4
        .value_kind:     hidden_block_count_x
      - .offset:         36
        .size:           4
        .value_kind:     hidden_block_count_y
      - .offset:         40
        .size:           4
        .value_kind:     hidden_block_count_z
      - .offset:         44
        .size:           2
        .value_kind:     hidden_group_size_x
      - .offset:         46
        .size:           2
        .value_kind:     hidden_group_size_y
      - .offset:         48
        .size:           2
        .value_kind:     hidden_group_size_z
      - .offset:         50
        .size:           2
        .value_kind:     hidden_remainder_x
      - .offset:         52
        .size:           2
        .value_kind:     hidden_remainder_y
      - .offset:         54
        .size:           2
        .value_kind:     hidden_remainder_z
      - .offset:         72
        .size:           8
        .value_kind:     hidden_global_offset_x
      - .offset:         80
        .size:           8
        .value_kind:     hidden_global_offset_y
      - .offset:         88
        .size:           8
        .value_kind:     hidden_global_offset_z
      - .offset:         96
        .size:           2
        .value_kind:     hidden_grid_dims
    .group_segment_fixed_size: 16384
    .kernarg_segment_align: 8
    .kernarg_segment_size: 288
    .language:       OpenCL C
    .language_version:
      - 2
      - 0
    .max_flat_workgroup_size: 1024
    .name:           _ZN2at6native12_GLOBAL__N_124philox_single_key_kernelIN3c108BFloat16EZZZZNS0_21_philox_uniform_cuda_ERNS_6TensorERKS5_ddENKUlvE_clEvENKUlvE2_clEvENKUlvE_clEvEUlmmE0_ZZZNS0_21_philox_uniform_cuda_ES6_S8_ddENKS9_clEvENKSA_clEvEUlT_E_EEvPSD_PKmlT0_T1_
    .private_segment_fixed_size: 0
    .sgpr_count:     25
    .sgpr_spill_count: 0
    .symbol:         _ZN2at6native12_GLOBAL__N_124philox_single_key_kernelIN3c108BFloat16EZZZZNS0_21_philox_uniform_cuda_ERNS_6TensorERKS5_ddENKUlvE_clEvENKUlvE2_clEvENKUlvE_clEvEUlmmE0_ZZZNS0_21_philox_uniform_cuda_ES6_S8_ddENKS9_clEvENKSA_clEvEUlT_E_EEvPSD_PKmlT0_T1_.kd
    .uniform_work_group_size: 1
    .uses_dynamic_stack: false
    .vgpr_count:     18
    .vgpr_spill_count: 0
    .wavefront_size: 64
  - .args:
      - .actual_access:  write_only
        .address_space:  global
        .offset:         0
        .size:           8
        .value_kind:     global_buffer
      - .actual_access:  read_only
        .address_space:  global
        .offset:         8
        .size:           8
        .value_kind:     global_buffer
      - .offset:         16
        .size:           8
        .value_kind:     by_value
      - .offset:         24
        .size:           8
        .value_kind:     by_value
      - .offset:         32
        .size:           1
        .value_kind:     by_value
      - .offset:         34
        .size:           4
        .value_kind:     by_value
      - .offset:         40
        .size:           260
        .value_kind:     by_value
      - .offset:         304
        .size:           4
        .value_kind:     hidden_block_count_x
      - .offset:         308
        .size:           4
        .value_kind:     hidden_block_count_y
      - .offset:         312
        .size:           4
        .value_kind:     hidden_block_count_z
      - .offset:         316
        .size:           2
        .value_kind:     hidden_group_size_x
      - .offset:         318
        .size:           2
        .value_kind:     hidden_group_size_y
      - .offset:         320
        .size:           2
        .value_kind:     hidden_group_size_z
      - .offset:         322
        .size:           2
        .value_kind:     hidden_remainder_x
      - .offset:         324
        .size:           2
        .value_kind:     hidden_remainder_y
      - .offset:         326
        .size:           2
        .value_kind:     hidden_remainder_z
      - .offset:         344
        .size:           8
        .value_kind:     hidden_global_offset_x
      - .offset:         352
        .size:           8
        .value_kind:     hidden_global_offset_y
      - .offset:         360
        .size:           8
        .value_kind:     hidden_global_offset_z
      - .offset:         368
        .size:           2
        .value_kind:     hidden_grid_dims
    .group_segment_fixed_size: 0
    .kernarg_segment_align: 8
    .kernarg_segment_size: 560
    .language:       OpenCL C
    .language_version:
      - 2
      - 0
    .max_flat_workgroup_size: 1024
    .name:           _ZN2at6native12_GLOBAL__N_123philox_multi_key_kernelIN3c108BFloat16EZZZZNS0_21_philox_uniform_cuda_ERNS_6TensorERKS5_ddENKUlvE_clEvENKUlvE2_clEvENKUlvE_clEvEUlmmE0_ZZZNS0_21_philox_uniform_cuda_ES6_S8_ddENKS9_clEvENKSA_clEvEUlT_E_EEvPSD_PKmllT0_T1_16OffsetCalculatorILi1EjLb0EE
    .private_segment_fixed_size: 0
    .sgpr_count:     39
    .sgpr_spill_count: 0
    .symbol:         _ZN2at6native12_GLOBAL__N_123philox_multi_key_kernelIN3c108BFloat16EZZZZNS0_21_philox_uniform_cuda_ERNS_6TensorERKS5_ddENKUlvE_clEvENKUlvE2_clEvENKUlvE_clEvEUlmmE0_ZZZNS0_21_philox_uniform_cuda_ES6_S8_ddENKS9_clEvENKSA_clEvEUlT_E_EEvPSD_PKmllT0_T1_16OffsetCalculatorILi1EjLb0EE.kd
    .uniform_work_group_size: 1
    .uses_dynamic_stack: false
    .vgpr_count:     26
    .vgpr_spill_count: 0
    .wavefront_size: 64
  - .args:
      - .actual_access:  write_only
        .address_space:  global
        .offset:         0
        .size:           8
        .value_kind:     global_buffer
      - .actual_access:  read_only
        .address_space:  global
        .offset:         8
        .size:           8
        .value_kind:     global_buffer
      - .offset:         16
        .size:           8
        .value_kind:     by_value
      - .offset:         24
        .size:           1
        .value_kind:     by_value
      - .offset:         32
        .size:           16
        .value_kind:     by_value
      - .offset:         48
        .size:           4
        .value_kind:     hidden_block_count_x
      - .offset:         52
        .size:           4
        .value_kind:     hidden_block_count_y
      - .offset:         56
        .size:           4
        .value_kind:     hidden_block_count_z
      - .offset:         60
        .size:           2
        .value_kind:     hidden_group_size_x
      - .offset:         62
        .size:           2
        .value_kind:     hidden_group_size_y
      - .offset:         64
        .size:           2
        .value_kind:     hidden_group_size_z
      - .offset:         66
        .size:           2
        .value_kind:     hidden_remainder_x
      - .offset:         68
        .size:           2
        .value_kind:     hidden_remainder_y
      - .offset:         70
        .size:           2
        .value_kind:     hidden_remainder_z
      - .offset:         88
        .size:           8
        .value_kind:     hidden_global_offset_x
      - .offset:         96
        .size:           8
        .value_kind:     hidden_global_offset_y
      - .offset:         104
        .size:           8
        .value_kind:     hidden_global_offset_z
      - .offset:         112
        .size:           2
        .value_kind:     hidden_grid_dims
    .group_segment_fixed_size: 16384
    .kernarg_segment_align: 8
    .kernarg_segment_size: 304
    .language:       OpenCL C
    .language_version:
      - 2
      - 0
    .max_flat_workgroup_size: 1024
    .name:           _ZN2at6native12_GLOBAL__N_124philox_single_key_kernelIdZZZZNS0_20_philox_normal_cuda_ERNS_6TensorERKS3_ddENKUlvE_clEvENKUlvE_clEvENKUlvE_clEvEUlmmE_ZZZNS0_20_philox_normal_cuda_ES4_S6_ddENKS7_clEvENKS8_clEvEUldE_EEvPT_PKmlT0_T1_
    .private_segment_fixed_size: 0
    .sgpr_count:     30
    .sgpr_spill_count: 0
    .symbol:         _ZN2at6native12_GLOBAL__N_124philox_single_key_kernelIdZZZZNS0_20_philox_normal_cuda_ERNS_6TensorERKS3_ddENKUlvE_clEvENKUlvE_clEvENKUlvE_clEvEUlmmE_ZZZNS0_20_philox_normal_cuda_ES4_S6_ddENKS7_clEvENKS8_clEvEUldE_EEvPT_PKmlT0_T1_.kd
    .uniform_work_group_size: 1
    .uses_dynamic_stack: false
    .vgpr_count:     32
    .vgpr_spill_count: 0
    .wavefront_size: 64
  - .args:
      - .actual_access:  write_only
        .address_space:  global
        .offset:         0
        .size:           8
        .value_kind:     global_buffer
      - .actual_access:  read_only
        .address_space:  global
        .offset:         8
        .size:           8
        .value_kind:     global_buffer
      - .offset:         16
        .size:           8
        .value_kind:     by_value
      - .offset:         24
        .size:           8
        .value_kind:     by_value
      - .offset:         32
        .size:           1
        .value_kind:     by_value
      - .offset:         40
        .size:           16
        .value_kind:     by_value
      - .offset:         56
        .size:           260
        .value_kind:     by_value
      - .offset:         320
        .size:           4
        .value_kind:     hidden_block_count_x
      - .offset:         324
        .size:           4
        .value_kind:     hidden_block_count_y
      - .offset:         328
        .size:           4
        .value_kind:     hidden_block_count_z
      - .offset:         332
        .size:           2
        .value_kind:     hidden_group_size_x
      - .offset:         334
        .size:           2
        .value_kind:     hidden_group_size_y
      - .offset:         336
        .size:           2
        .value_kind:     hidden_group_size_z
      - .offset:         338
        .size:           2
        .value_kind:     hidden_remainder_x
      - .offset:         340
        .size:           2
        .value_kind:     hidden_remainder_y
      - .offset:         342
        .size:           2
        .value_kind:     hidden_remainder_z
      - .offset:         360
        .size:           8
        .value_kind:     hidden_global_offset_x
      - .offset:         368
        .size:           8
        .value_kind:     hidden_global_offset_y
      - .offset:         376
        .size:           8
        .value_kind:     hidden_global_offset_z
      - .offset:         384
        .size:           2
        .value_kind:     hidden_grid_dims
    .group_segment_fixed_size: 0
    .kernarg_segment_align: 8
    .kernarg_segment_size: 576
    .language:       OpenCL C
    .language_version:
      - 2
      - 0
    .max_flat_workgroup_size: 1024
    .name:           _ZN2at6native12_GLOBAL__N_123philox_multi_key_kernelIdZZZZNS0_20_philox_normal_cuda_ERNS_6TensorERKS3_ddENKUlvE_clEvENKUlvE_clEvENKUlvE_clEvEUlmmE_ZZZNS0_20_philox_normal_cuda_ES4_S6_ddENKS7_clEvENKS8_clEvEUldE_EEvPT_PKmllT0_T1_16OffsetCalculatorILi1EjLb0EE
    .private_segment_fixed_size: 0
    .sgpr_count:     39
    .sgpr_spill_count: 0
    .symbol:         _ZN2at6native12_GLOBAL__N_123philox_multi_key_kernelIdZZZZNS0_20_philox_normal_cuda_ERNS_6TensorERKS3_ddENKUlvE_clEvENKUlvE_clEvENKUlvE_clEvEUlmmE_ZZZNS0_20_philox_normal_cuda_ES4_S6_ddENKS7_clEvENKS8_clEvEUldE_EEvPT_PKmllT0_T1_16OffsetCalculatorILi1EjLb0EE.kd
    .uniform_work_group_size: 1
    .uses_dynamic_stack: false
    .vgpr_count:     41
    .vgpr_spill_count: 0
    .wavefront_size: 64
  - .args:
      - .actual_access:  write_only
        .address_space:  global
        .offset:         0
        .size:           8
        .value_kind:     global_buffer
      - .actual_access:  read_only
        .address_space:  global
        .offset:         8
        .size:           8
        .value_kind:     global_buffer
      - .offset:         16
        .size:           8
        .value_kind:     by_value
      - .offset:         24
        .size:           1
        .value_kind:     by_value
      - .offset:         28
        .size:           8
        .value_kind:     by_value
      - .offset:         40
        .size:           4
        .value_kind:     hidden_block_count_x
      - .offset:         44
        .size:           4
        .value_kind:     hidden_block_count_y
      - .offset:         48
        .size:           4
        .value_kind:     hidden_block_count_z
      - .offset:         52
        .size:           2
        .value_kind:     hidden_group_size_x
      - .offset:         54
        .size:           2
        .value_kind:     hidden_group_size_y
      - .offset:         56
        .size:           2
        .value_kind:     hidden_group_size_z
      - .offset:         58
        .size:           2
        .value_kind:     hidden_remainder_x
      - .offset:         60
        .size:           2
        .value_kind:     hidden_remainder_y
      - .offset:         62
        .size:           2
        .value_kind:     hidden_remainder_z
      - .offset:         80
        .size:           8
        .value_kind:     hidden_global_offset_x
      - .offset:         88
        .size:           8
        .value_kind:     hidden_global_offset_y
      - .offset:         96
        .size:           8
        .value_kind:     hidden_global_offset_z
      - .offset:         104
        .size:           2
        .value_kind:     hidden_grid_dims
    .group_segment_fixed_size: 16384
    .kernarg_segment_align: 8
    .kernarg_segment_size: 296
    .language:       OpenCL C
    .language_version:
      - 2
      - 0
    .max_flat_workgroup_size: 1024
    .name:           _ZN2at6native12_GLOBAL__N_124philox_single_key_kernelIfZZZZNS0_20_philox_normal_cuda_ERNS_6TensorERKS3_ddENKUlvE_clEvENKUlvE0_clEvENKUlvE_clEvEUlmmE0_ZZZNS0_20_philox_normal_cuda_ES4_S6_ddENKS7_clEvENKS8_clEvEUlfE_EEvPT_PKmlT0_T1_
    .private_segment_fixed_size: 0
    .sgpr_count:     27
    .sgpr_spill_count: 0
    .symbol:         _ZN2at6native12_GLOBAL__N_124philox_single_key_kernelIfZZZZNS0_20_philox_normal_cuda_ERNS_6TensorERKS3_ddENKUlvE_clEvENKUlvE0_clEvENKUlvE_clEvEUlmmE0_ZZZNS0_20_philox_normal_cuda_ES4_S6_ddENKS7_clEvENKS8_clEvEUlfE_EEvPT_PKmlT0_T1_.kd
    .uniform_work_group_size: 1
    .uses_dynamic_stack: false
    .vgpr_count:     14
    .vgpr_spill_count: 0
    .wavefront_size: 64
  - .args:
      - .actual_access:  write_only
        .address_space:  global
        .offset:         0
        .size:           8
        .value_kind:     global_buffer
      - .actual_access:  read_only
        .address_space:  global
        .offset:         8
        .size:           8
        .value_kind:     global_buffer
      - .offset:         16
        .size:           8
        .value_kind:     by_value
      - .offset:         24
        .size:           8
        .value_kind:     by_value
      - .offset:         32
        .size:           1
        .value_kind:     by_value
      - .offset:         36
        .size:           8
        .value_kind:     by_value
      - .offset:         44
        .size:           260
        .value_kind:     by_value
      - .offset:         304
        .size:           4
        .value_kind:     hidden_block_count_x
      - .offset:         308
        .size:           4
        .value_kind:     hidden_block_count_y
      - .offset:         312
        .size:           4
        .value_kind:     hidden_block_count_z
      - .offset:         316
        .size:           2
        .value_kind:     hidden_group_size_x
      - .offset:         318
        .size:           2
        .value_kind:     hidden_group_size_y
      - .offset:         320
        .size:           2
        .value_kind:     hidden_group_size_z
      - .offset:         322
        .size:           2
        .value_kind:     hidden_remainder_x
      - .offset:         324
        .size:           2
        .value_kind:     hidden_remainder_y
      - .offset:         326
        .size:           2
        .value_kind:     hidden_remainder_z
      - .offset:         344
        .size:           8
        .value_kind:     hidden_global_offset_x
      - .offset:         352
        .size:           8
        .value_kind:     hidden_global_offset_y
      - .offset:         360
        .size:           8
        .value_kind:     hidden_global_offset_z
      - .offset:         368
        .size:           2
        .value_kind:     hidden_grid_dims
    .group_segment_fixed_size: 0
    .kernarg_segment_align: 8
    .kernarg_segment_size: 560
    .language:       OpenCL C
    .language_version:
      - 2
      - 0
    .max_flat_workgroup_size: 1024
    .name:           _ZN2at6native12_GLOBAL__N_123philox_multi_key_kernelIfZZZZNS0_20_philox_normal_cuda_ERNS_6TensorERKS3_ddENKUlvE_clEvENKUlvE0_clEvENKUlvE_clEvEUlmmE0_ZZZNS0_20_philox_normal_cuda_ES4_S6_ddENKS7_clEvENKS8_clEvEUlfE_EEvPT_PKmllT0_T1_16OffsetCalculatorILi1EjLb0EE
    .private_segment_fixed_size: 0
    .sgpr_count:     41
    .sgpr_spill_count: 0
    .symbol:         _ZN2at6native12_GLOBAL__N_123philox_multi_key_kernelIfZZZZNS0_20_philox_normal_cuda_ERNS_6TensorERKS3_ddENKUlvE_clEvENKUlvE0_clEvENKUlvE_clEvEUlmmE0_ZZZNS0_20_philox_normal_cuda_ES4_S6_ddENKS7_clEvENKS8_clEvEUlfE_EEvPT_PKmllT0_T1_16OffsetCalculatorILi1EjLb0EE.kd
    .uniform_work_group_size: 1
    .uses_dynamic_stack: false
    .vgpr_count:     25
    .vgpr_spill_count: 0
    .wavefront_size: 64
  - .args:
      - .actual_access:  write_only
        .address_space:  global
        .offset:         0
        .size:           8
        .value_kind:     global_buffer
      - .actual_access:  read_only
        .address_space:  global
        .offset:         8
        .size:           8
        .value_kind:     global_buffer
      - .offset:         16
        .size:           8
        .value_kind:     by_value
      - .offset:         24
        .size:           1
        .value_kind:     by_value
      - .offset:         28
        .size:           8
        .value_kind:     by_value
      - .offset:         40
        .size:           4
        .value_kind:     hidden_block_count_x
      - .offset:         44
        .size:           4
        .value_kind:     hidden_block_count_y
      - .offset:         48
        .size:           4
        .value_kind:     hidden_block_count_z
      - .offset:         52
        .size:           2
        .value_kind:     hidden_group_size_x
      - .offset:         54
        .size:           2
        .value_kind:     hidden_group_size_y
      - .offset:         56
        .size:           2
        .value_kind:     hidden_group_size_z
      - .offset:         58
        .size:           2
        .value_kind:     hidden_remainder_x
      - .offset:         60
        .size:           2
        .value_kind:     hidden_remainder_y
      - .offset:         62
        .size:           2
        .value_kind:     hidden_remainder_z
      - .offset:         80
        .size:           8
        .value_kind:     hidden_global_offset_x
      - .offset:         88
        .size:           8
        .value_kind:     hidden_global_offset_y
      - .offset:         96
        .size:           8
        .value_kind:     hidden_global_offset_z
      - .offset:         104
        .size:           2
        .value_kind:     hidden_grid_dims
    .group_segment_fixed_size: 16384
    .kernarg_segment_align: 8
    .kernarg_segment_size: 296
    .language:       OpenCL C
    .language_version:
      - 2
      - 0
    .max_flat_workgroup_size: 1024
    .name:           _ZN2at6native12_GLOBAL__N_124philox_single_key_kernelIN3c104HalfEZZZZNS0_20_philox_normal_cuda_ERNS_6TensorERKS5_ddENKUlvE_clEvENKUlvE1_clEvENKUlvE_clEvEUlmmE0_ZZZNS0_20_philox_normal_cuda_ES6_S8_ddENKS9_clEvENKSA_clEvEUlfE_EEvPT_PKmlT0_T1_
    .private_segment_fixed_size: 0
    .sgpr_count:     27
    .sgpr_spill_count: 0
    .symbol:         _ZN2at6native12_GLOBAL__N_124philox_single_key_kernelIN3c104HalfEZZZZNS0_20_philox_normal_cuda_ERNS_6TensorERKS5_ddENKUlvE_clEvENKUlvE1_clEvENKUlvE_clEvEUlmmE0_ZZZNS0_20_philox_normal_cuda_ES6_S8_ddENKS9_clEvENKSA_clEvEUlfE_EEvPT_PKmlT0_T1_.kd
    .uniform_work_group_size: 1
    .uses_dynamic_stack: false
    .vgpr_count:     14
    .vgpr_spill_count: 0
    .wavefront_size: 64
  - .args:
      - .actual_access:  write_only
        .address_space:  global
        .offset:         0
        .size:           8
        .value_kind:     global_buffer
      - .actual_access:  read_only
        .address_space:  global
        .offset:         8
        .size:           8
        .value_kind:     global_buffer
      - .offset:         16
        .size:           8
        .value_kind:     by_value
      - .offset:         24
        .size:           8
        .value_kind:     by_value
      - .offset:         32
        .size:           1
        .value_kind:     by_value
      - .offset:         36
        .size:           8
        .value_kind:     by_value
      - .offset:         44
        .size:           260
        .value_kind:     by_value
      - .offset:         304
        .size:           4
        .value_kind:     hidden_block_count_x
      - .offset:         308
        .size:           4
        .value_kind:     hidden_block_count_y
      - .offset:         312
        .size:           4
        .value_kind:     hidden_block_count_z
      - .offset:         316
        .size:           2
        .value_kind:     hidden_group_size_x
      - .offset:         318
        .size:           2
        .value_kind:     hidden_group_size_y
      - .offset:         320
        .size:           2
        .value_kind:     hidden_group_size_z
      - .offset:         322
        .size:           2
        .value_kind:     hidden_remainder_x
      - .offset:         324
        .size:           2
        .value_kind:     hidden_remainder_y
      - .offset:         326
        .size:           2
        .value_kind:     hidden_remainder_z
      - .offset:         344
        .size:           8
        .value_kind:     hidden_global_offset_x
      - .offset:         352
        .size:           8
        .value_kind:     hidden_global_offset_y
      - .offset:         360
        .size:           8
        .value_kind:     hidden_global_offset_z
      - .offset:         368
        .size:           2
        .value_kind:     hidden_grid_dims
    .group_segment_fixed_size: 0
    .kernarg_segment_align: 8
    .kernarg_segment_size: 560
    .language:       OpenCL C
    .language_version:
      - 2
      - 0
    .max_flat_workgroup_size: 1024
    .name:           _ZN2at6native12_GLOBAL__N_123philox_multi_key_kernelIN3c104HalfEZZZZNS0_20_philox_normal_cuda_ERNS_6TensorERKS5_ddENKUlvE_clEvENKUlvE1_clEvENKUlvE_clEvEUlmmE0_ZZZNS0_20_philox_normal_cuda_ES6_S8_ddENKS9_clEvENKSA_clEvEUlfE_EEvPT_PKmllT0_T1_16OffsetCalculatorILi1EjLb0EE
    .private_segment_fixed_size: 0
    .sgpr_count:     41
    .sgpr_spill_count: 0
    .symbol:         _ZN2at6native12_GLOBAL__N_123philox_multi_key_kernelIN3c104HalfEZZZZNS0_20_philox_normal_cuda_ERNS_6TensorERKS5_ddENKUlvE_clEvENKUlvE1_clEvENKUlvE_clEvEUlmmE0_ZZZNS0_20_philox_normal_cuda_ES6_S8_ddENKS9_clEvENKSA_clEvEUlfE_EEvPT_PKmllT0_T1_16OffsetCalculatorILi1EjLb0EE.kd
    .uniform_work_group_size: 1
    .uses_dynamic_stack: false
    .vgpr_count:     25
    .vgpr_spill_count: 0
    .wavefront_size: 64
  - .args:
      - .actual_access:  write_only
        .address_space:  global
        .offset:         0
        .size:           8
        .value_kind:     global_buffer
      - .actual_access:  read_only
        .address_space:  global
        .offset:         8
        .size:           8
        .value_kind:     global_buffer
      - .offset:         16
        .size:           8
        .value_kind:     by_value
      - .offset:         24
        .size:           1
        .value_kind:     by_value
      - .offset:         28
        .size:           8
        .value_kind:     by_value
      - .offset:         40
        .size:           4
        .value_kind:     hidden_block_count_x
      - .offset:         44
        .size:           4
        .value_kind:     hidden_block_count_y
      - .offset:         48
        .size:           4
        .value_kind:     hidden_block_count_z
      - .offset:         52
        .size:           2
        .value_kind:     hidden_group_size_x
      - .offset:         54
        .size:           2
        .value_kind:     hidden_group_size_y
      - .offset:         56
        .size:           2
        .value_kind:     hidden_group_size_z
      - .offset:         58
        .size:           2
        .value_kind:     hidden_remainder_x
      - .offset:         60
        .size:           2
        .value_kind:     hidden_remainder_y
      - .offset:         62
        .size:           2
        .value_kind:     hidden_remainder_z
      - .offset:         80
        .size:           8
        .value_kind:     hidden_global_offset_x
      - .offset:         88
        .size:           8
        .value_kind:     hidden_global_offset_y
      - .offset:         96
        .size:           8
        .value_kind:     hidden_global_offset_z
      - .offset:         104
        .size:           2
        .value_kind:     hidden_grid_dims
    .group_segment_fixed_size: 16384
    .kernarg_segment_align: 8
    .kernarg_segment_size: 296
    .language:       OpenCL C
    .language_version:
      - 2
      - 0
    .max_flat_workgroup_size: 1024
    .name:           _ZN2at6native12_GLOBAL__N_124philox_single_key_kernelIN3c108BFloat16EZZZZNS0_20_philox_normal_cuda_ERNS_6TensorERKS5_ddENKUlvE_clEvENKUlvE2_clEvENKUlvE_clEvEUlmmE0_ZZZNS0_20_philox_normal_cuda_ES6_S8_ddENKS9_clEvENKSA_clEvEUlfE_EEvPT_PKmlT0_T1_
    .private_segment_fixed_size: 0
    .sgpr_count:     27
    .sgpr_spill_count: 0
    .symbol:         _ZN2at6native12_GLOBAL__N_124philox_single_key_kernelIN3c108BFloat16EZZZZNS0_20_philox_normal_cuda_ERNS_6TensorERKS5_ddENKUlvE_clEvENKUlvE2_clEvENKUlvE_clEvEUlmmE0_ZZZNS0_20_philox_normal_cuda_ES6_S8_ddENKS9_clEvENKSA_clEvEUlfE_EEvPT_PKmlT0_T1_.kd
    .uniform_work_group_size: 1
    .uses_dynamic_stack: false
    .vgpr_count:     16
    .vgpr_spill_count: 0
    .wavefront_size: 64
  - .args:
      - .actual_access:  write_only
        .address_space:  global
        .offset:         0
        .size:           8
        .value_kind:     global_buffer
      - .actual_access:  read_only
        .address_space:  global
        .offset:         8
        .size:           8
        .value_kind:     global_buffer
      - .offset:         16
        .size:           8
        .value_kind:     by_value
      - .offset:         24
        .size:           8
        .value_kind:     by_value
      - .offset:         32
        .size:           1
        .value_kind:     by_value
      - .offset:         36
        .size:           8
        .value_kind:     by_value
      - .offset:         44
        .size:           260
        .value_kind:     by_value
      - .offset:         304
        .size:           4
        .value_kind:     hidden_block_count_x
      - .offset:         308
        .size:           4
        .value_kind:     hidden_block_count_y
      - .offset:         312
        .size:           4
        .value_kind:     hidden_block_count_z
      - .offset:         316
        .size:           2
        .value_kind:     hidden_group_size_x
      - .offset:         318
        .size:           2
        .value_kind:     hidden_group_size_y
      - .offset:         320
        .size:           2
        .value_kind:     hidden_group_size_z
      - .offset:         322
        .size:           2
        .value_kind:     hidden_remainder_x
      - .offset:         324
        .size:           2
        .value_kind:     hidden_remainder_y
      - .offset:         326
        .size:           2
        .value_kind:     hidden_remainder_z
      - .offset:         344
        .size:           8
        .value_kind:     hidden_global_offset_x
      - .offset:         352
        .size:           8
        .value_kind:     hidden_global_offset_y
      - .offset:         360
        .size:           8
        .value_kind:     hidden_global_offset_z
      - .offset:         368
        .size:           2
        .value_kind:     hidden_grid_dims
    .group_segment_fixed_size: 0
    .kernarg_segment_align: 8
    .kernarg_segment_size: 560
    .language:       OpenCL C
    .language_version:
      - 2
      - 0
    .max_flat_workgroup_size: 1024
    .name:           _ZN2at6native12_GLOBAL__N_123philox_multi_key_kernelIN3c108BFloat16EZZZZNS0_20_philox_normal_cuda_ERNS_6TensorERKS5_ddENKUlvE_clEvENKUlvE2_clEvENKUlvE_clEvEUlmmE0_ZZZNS0_20_philox_normal_cuda_ES6_S8_ddENKS9_clEvENKSA_clEvEUlfE_EEvPT_PKmllT0_T1_16OffsetCalculatorILi1EjLb0EE
    .private_segment_fixed_size: 0
    .sgpr_count:     41
    .sgpr_spill_count: 0
    .symbol:         _ZN2at6native12_GLOBAL__N_123philox_multi_key_kernelIN3c108BFloat16EZZZZNS0_20_philox_normal_cuda_ERNS_6TensorERKS5_ddENKUlvE_clEvENKUlvE2_clEvENKUlvE_clEvEUlmmE0_ZZZNS0_20_philox_normal_cuda_ES6_S8_ddENKS9_clEvENKSA_clEvEUlfE_EEvPT_PKmllT0_T1_16OffsetCalculatorILi1EjLb0EE.kd
    .uniform_work_group_size: 1
    .uses_dynamic_stack: false
    .vgpr_count:     25
    .vgpr_spill_count: 0
    .wavefront_size: 64
amdhsa.target:   amdgcn-amd-amdhsa--gfx906
amdhsa.version:
  - 1
  - 2
...

	.end_amdgpu_metadata
